;; amdgpu-corpus repo=ROCm/rocFFT kind=compiled arch=gfx1030 opt=O3
	.text
	.amdgcn_target "amdgcn-amd-amdhsa--gfx1030"
	.amdhsa_code_object_version 6
	.protected	fft_rtc_fwd_len1275_factors_17_3_5_5_wgs_255_tpt_85_halfLds_sp_op_CI_CI_sbrr_dirReg ; -- Begin function fft_rtc_fwd_len1275_factors_17_3_5_5_wgs_255_tpt_85_halfLds_sp_op_CI_CI_sbrr_dirReg
	.globl	fft_rtc_fwd_len1275_factors_17_3_5_5_wgs_255_tpt_85_halfLds_sp_op_CI_CI_sbrr_dirReg
	.p2align	8
	.type	fft_rtc_fwd_len1275_factors_17_3_5_5_wgs_255_tpt_85_halfLds_sp_op_CI_CI_sbrr_dirReg,@function
fft_rtc_fwd_len1275_factors_17_3_5_5_wgs_255_tpt_85_halfLds_sp_op_CI_CI_sbrr_dirReg: ; @fft_rtc_fwd_len1275_factors_17_3_5_5_wgs_255_tpt_85_halfLds_sp_op_CI_CI_sbrr_dirReg
; %bb.0:
	s_clause 0x1
	s_load_dwordx4 s[16:19], s[4:5], 0x18
	s_load_dwordx4 s[12:15], s[4:5], 0x0
	v_mul_u32_u24_e32 v1, 0x304, v0
	v_mov_b32_e32 v7, 0
	v_mov_b32_e32 v16, 0
	v_mov_b32_e32 v17, 0
	s_load_dwordx4 s[8:11], s[4:5], 0x58
	s_waitcnt lgkmcnt(0)
	s_load_dwordx2 s[20:21], s[16:17], 0x0
	s_load_dwordx2 s[2:3], s[18:19], 0x0
	v_lshrrev_b32_e32 v1, 16, v1
	v_cmp_lt_u64_e64 s0, s[14:15], 2
	v_mad_u64_u32 v[5:6], null, s6, 3, v[1:2]
	v_mov_b32_e32 v6, v7
	v_mov_b32_e32 v1, v16
	;; [unrolled: 1-line block ×3, first 2 shown]
	s_and_b32 vcc_lo, exec_lo, s0
	v_mov_b32_e32 v3, v5
	v_mov_b32_e32 v4, v6
	s_cbranch_vccnz .LBB0_8
; %bb.1:
	s_load_dwordx2 s[0:1], s[4:5], 0x10
	v_mov_b32_e32 v16, 0
	v_mov_b32_e32 v17, 0
	s_add_u32 s6, s18, 8
	v_mov_b32_e32 v10, v6
	s_addc_u32 s7, s19, 0
	v_mov_b32_e32 v1, v16
	v_mov_b32_e32 v9, v5
	s_add_u32 s22, s16, 8
	v_mov_b32_e32 v2, v17
	s_addc_u32 s23, s17, 0
	s_mov_b64 s[26:27], 1
	s_waitcnt lgkmcnt(0)
	s_add_u32 s24, s0, 8
	s_addc_u32 s25, s1, 0
.LBB0_2:                                ; =>This Inner Loop Header: Depth=1
	s_load_dwordx2 s[28:29], s[24:25], 0x0
                                        ; implicit-def: $vgpr3_vgpr4
	s_mov_b32 s0, exec_lo
	s_waitcnt lgkmcnt(0)
	v_or_b32_e32 v8, s29, v10
	v_cmpx_ne_u64_e32 0, v[7:8]
	s_xor_b32 s1, exec_lo, s0
	s_cbranch_execz .LBB0_4
; %bb.3:                                ;   in Loop: Header=BB0_2 Depth=1
	v_cvt_f32_u32_e32 v3, s28
	v_cvt_f32_u32_e32 v4, s29
	s_sub_u32 s0, 0, s28
	s_subb_u32 s30, 0, s29
	v_fmac_f32_e32 v3, 0x4f800000, v4
	v_rcp_f32_e32 v3, v3
	v_mul_f32_e32 v3, 0x5f7ffffc, v3
	v_mul_f32_e32 v4, 0x2f800000, v3
	v_trunc_f32_e32 v4, v4
	v_fmac_f32_e32 v3, 0xcf800000, v4
	v_cvt_u32_f32_e32 v4, v4
	v_cvt_u32_f32_e32 v3, v3
	v_mul_lo_u32 v6, s0, v4
	v_mul_hi_u32 v8, s0, v3
	v_mul_lo_u32 v11, s30, v3
	v_add_nc_u32_e32 v6, v8, v6
	v_mul_lo_u32 v8, s0, v3
	v_add_nc_u32_e32 v6, v6, v11
	v_mul_hi_u32 v11, v3, v8
	v_mul_lo_u32 v12, v3, v6
	v_mul_hi_u32 v13, v3, v6
	v_mul_hi_u32 v14, v4, v8
	v_mul_lo_u32 v8, v4, v8
	v_mul_hi_u32 v15, v4, v6
	v_mul_lo_u32 v6, v4, v6
	v_add_co_u32 v11, vcc_lo, v11, v12
	v_add_co_ci_u32_e32 v12, vcc_lo, 0, v13, vcc_lo
	v_add_co_u32 v8, vcc_lo, v11, v8
	v_add_co_ci_u32_e32 v8, vcc_lo, v12, v14, vcc_lo
	v_add_co_ci_u32_e32 v11, vcc_lo, 0, v15, vcc_lo
	v_add_co_u32 v6, vcc_lo, v8, v6
	v_add_co_ci_u32_e32 v8, vcc_lo, 0, v11, vcc_lo
	v_add_co_u32 v3, vcc_lo, v3, v6
	v_add_co_ci_u32_e32 v4, vcc_lo, v4, v8, vcc_lo
	v_mul_hi_u32 v6, s0, v3
	v_mul_lo_u32 v11, s30, v3
	v_mul_lo_u32 v8, s0, v4
	v_add_nc_u32_e32 v6, v6, v8
	v_mul_lo_u32 v8, s0, v3
	v_add_nc_u32_e32 v6, v6, v11
	v_mul_hi_u32 v11, v3, v8
	v_mul_lo_u32 v12, v3, v6
	v_mul_hi_u32 v13, v3, v6
	v_mul_hi_u32 v14, v4, v8
	v_mul_lo_u32 v8, v4, v8
	v_mul_hi_u32 v15, v4, v6
	v_mul_lo_u32 v6, v4, v6
	v_add_co_u32 v11, vcc_lo, v11, v12
	v_add_co_ci_u32_e32 v12, vcc_lo, 0, v13, vcc_lo
	v_add_co_u32 v8, vcc_lo, v11, v8
	v_add_co_ci_u32_e32 v8, vcc_lo, v12, v14, vcc_lo
	v_add_co_ci_u32_e32 v11, vcc_lo, 0, v15, vcc_lo
	v_add_co_u32 v6, vcc_lo, v8, v6
	v_add_co_ci_u32_e32 v8, vcc_lo, 0, v11, vcc_lo
	v_add_co_u32 v6, vcc_lo, v3, v6
	v_add_co_ci_u32_e32 v8, vcc_lo, v4, v8, vcc_lo
	v_mul_hi_u32 v15, v9, v6
	v_mad_u64_u32 v[11:12], null, v10, v6, 0
	v_mad_u64_u32 v[3:4], null, v9, v8, 0
	v_mad_u64_u32 v[13:14], null, v10, v8, 0
	v_add_co_u32 v3, vcc_lo, v15, v3
	v_add_co_ci_u32_e32 v4, vcc_lo, 0, v4, vcc_lo
	v_add_co_u32 v3, vcc_lo, v3, v11
	v_add_co_ci_u32_e32 v3, vcc_lo, v4, v12, vcc_lo
	v_add_co_ci_u32_e32 v4, vcc_lo, 0, v14, vcc_lo
	v_add_co_u32 v6, vcc_lo, v3, v13
	v_add_co_ci_u32_e32 v8, vcc_lo, 0, v4, vcc_lo
	v_mul_lo_u32 v11, s29, v6
	v_mad_u64_u32 v[3:4], null, s28, v6, 0
	v_mul_lo_u32 v12, s28, v8
	v_sub_co_u32 v3, vcc_lo, v9, v3
	v_add3_u32 v4, v4, v12, v11
	v_sub_nc_u32_e32 v11, v10, v4
	v_subrev_co_ci_u32_e64 v11, s0, s29, v11, vcc_lo
	v_add_co_u32 v12, s0, v6, 2
	v_add_co_ci_u32_e64 v13, s0, 0, v8, s0
	v_sub_co_u32 v14, s0, v3, s28
	v_sub_co_ci_u32_e32 v4, vcc_lo, v10, v4, vcc_lo
	v_subrev_co_ci_u32_e64 v11, s0, 0, v11, s0
	v_cmp_le_u32_e32 vcc_lo, s28, v14
	v_cmp_eq_u32_e64 s0, s29, v4
	v_cndmask_b32_e64 v14, 0, -1, vcc_lo
	v_cmp_le_u32_e32 vcc_lo, s29, v11
	v_cndmask_b32_e64 v15, 0, -1, vcc_lo
	v_cmp_le_u32_e32 vcc_lo, s28, v3
	;; [unrolled: 2-line block ×3, first 2 shown]
	v_cndmask_b32_e64 v18, 0, -1, vcc_lo
	v_cmp_eq_u32_e32 vcc_lo, s29, v11
	v_cndmask_b32_e64 v3, v18, v3, s0
	v_cndmask_b32_e32 v11, v15, v14, vcc_lo
	v_add_co_u32 v14, vcc_lo, v6, 1
	v_add_co_ci_u32_e32 v15, vcc_lo, 0, v8, vcc_lo
	v_cmp_ne_u32_e32 vcc_lo, 0, v11
	v_cndmask_b32_e32 v4, v15, v13, vcc_lo
	v_cndmask_b32_e32 v11, v14, v12, vcc_lo
	v_cmp_ne_u32_e32 vcc_lo, 0, v3
	v_cndmask_b32_e32 v4, v8, v4, vcc_lo
	v_cndmask_b32_e32 v3, v6, v11, vcc_lo
.LBB0_4:                                ;   in Loop: Header=BB0_2 Depth=1
	s_andn2_saveexec_b32 s0, s1
	s_cbranch_execz .LBB0_6
; %bb.5:                                ;   in Loop: Header=BB0_2 Depth=1
	v_cvt_f32_u32_e32 v3, s28
	s_sub_i32 s1, 0, s28
	v_rcp_iflag_f32_e32 v3, v3
	v_mul_f32_e32 v3, 0x4f7ffffe, v3
	v_cvt_u32_f32_e32 v3, v3
	v_mul_lo_u32 v4, s1, v3
	v_mul_hi_u32 v4, v3, v4
	v_add_nc_u32_e32 v3, v3, v4
	v_mul_hi_u32 v3, v9, v3
	v_mul_lo_u32 v4, v3, s28
	v_add_nc_u32_e32 v6, 1, v3
	v_sub_nc_u32_e32 v4, v9, v4
	v_subrev_nc_u32_e32 v8, s28, v4
	v_cmp_le_u32_e32 vcc_lo, s28, v4
	v_cndmask_b32_e32 v4, v4, v8, vcc_lo
	v_cndmask_b32_e32 v3, v3, v6, vcc_lo
	v_cmp_le_u32_e32 vcc_lo, s28, v4
	v_add_nc_u32_e32 v6, 1, v3
	v_mov_b32_e32 v4, v7
	v_cndmask_b32_e32 v3, v3, v6, vcc_lo
.LBB0_6:                                ;   in Loop: Header=BB0_2 Depth=1
	s_or_b32 exec_lo, exec_lo, s0
	v_mul_lo_u32 v6, v4, s28
	v_mul_lo_u32 v8, v3, s29
	s_load_dwordx2 s[0:1], s[22:23], 0x0
	v_mad_u64_u32 v[11:12], null, v3, s28, 0
	s_load_dwordx2 s[28:29], s[6:7], 0x0
	s_add_u32 s26, s26, 1
	s_addc_u32 s27, s27, 0
	s_add_u32 s6, s6, 8
	s_addc_u32 s7, s7, 0
	s_add_u32 s22, s22, 8
	v_add3_u32 v6, v12, v8, v6
	v_sub_co_u32 v8, vcc_lo, v9, v11
	s_addc_u32 s23, s23, 0
	s_add_u32 s24, s24, 8
	v_sub_co_ci_u32_e32 v6, vcc_lo, v10, v6, vcc_lo
	s_addc_u32 s25, s25, 0
	s_waitcnt lgkmcnt(0)
	v_mul_lo_u32 v9, s0, v6
	v_mul_lo_u32 v10, s1, v8
	v_mad_u64_u32 v[16:17], null, s0, v8, v[16:17]
	v_mul_lo_u32 v6, s28, v6
	v_mul_lo_u32 v11, s29, v8
	v_mad_u64_u32 v[1:2], null, s28, v8, v[1:2]
	v_cmp_ge_u64_e64 s0, s[26:27], s[14:15]
	v_add3_u32 v17, v10, v17, v9
	v_add3_u32 v2, v11, v2, v6
	s_and_b32 vcc_lo, exec_lo, s0
	s_cbranch_vccnz .LBB0_8
; %bb.7:                                ;   in Loop: Header=BB0_2 Depth=1
	v_mov_b32_e32 v10, v4
	v_mov_b32_e32 v9, v3
	s_branch .LBB0_2
.LBB0_8:
	s_load_dwordx2 s[0:1], s[4:5], 0x28
	v_mul_hi_u32 v6, 0x3030304, v0
	s_lshl_b64 s[6:7], s[14:15], 3
	v_mov_b32_e32 v29, 0
	v_mov_b32_e32 v28, 0
	s_add_u32 s4, s18, s6
	s_addc_u32 s5, s19, s7
                                        ; implicit-def: $vgpr47
                                        ; implicit-def: $vgpr43
                                        ; implicit-def: $vgpr25
                                        ; implicit-def: $vgpr27
                                        ; implicit-def: $vgpr19
                                        ; implicit-def: $vgpr13
                                        ; implicit-def: $vgpr7
                                        ; implicit-def: $vgpr9
                                        ; implicit-def: $vgpr51
                                        ; implicit-def: $vgpr53
                                        ; implicit-def: $vgpr49
                                        ; implicit-def: $vgpr45
                                        ; implicit-def: $vgpr39
                                        ; implicit-def: $vgpr23
                                        ; implicit-def: $vgpr15
                                        ; implicit-def: $vgpr11
	v_mul_u32_u24_e32 v6, 0x55, v6
	v_sub_nc_u32_e32 v0, v0, v6
	s_waitcnt lgkmcnt(0)
	v_cmp_gt_u64_e32 vcc_lo, s[0:1], v[3:4]
	v_cmp_gt_u32_e64 s0, 0x4b, v0
	s_and_b32 s1, vcc_lo, s0
	s_and_saveexec_b32 s14, s1
	s_cbranch_execz .LBB0_10
; %bb.9:
	s_add_u32 s6, s16, s6
	s_addc_u32 s7, s17, s7
	v_add_nc_u32_e32 v21, 0x96, v0
	s_load_dwordx2 s[6:7], s[6:7], 0x0
	v_add_nc_u32_e32 v22, 0xe1, v0
	v_mad_u64_u32 v[6:7], null, s20, v0, 0
	v_lshlrev_b64 v[8:9], 3, v[16:17]
	v_add_nc_u32_e32 v20, 0x4b, v0
	v_mad_u64_u32 v[12:13], null, s20, v21, 0
	v_mad_u64_u32 v[14:15], null, s20, v22, 0
	;; [unrolled: 1-line block ×4, first 2 shown]
	v_mov_b32_e32 v7, v13
	v_add_nc_u32_e32 v23, 0x12c, v0
	v_mov_b32_e32 v13, v15
	v_add_nc_u32_e32 v32, 0x2ee, v0
	v_mad_u64_u32 v[19:20], null, s21, v20, v[11:12]
	s_waitcnt lgkmcnt(0)
	v_mul_lo_u32 v24, s7, v3
	v_mul_lo_u32 v25, s6, v4
	v_mad_u64_u32 v[16:17], null, s6, v3, 0
	v_mad_u64_u32 v[20:21], null, s21, v21, v[7:8]
	v_mov_b32_e32 v7, v18
	v_add_nc_u32_e32 v21, 0x177, v0
	v_mov_b32_e32 v11, v19
	v_add_nc_u32_e32 v36, 0x3cf, v0
	v_add3_u32 v17, v17, v25, v24
	v_lshlrev_b64 v[6:7], 3, v[6:7]
	v_add_nc_u32_e32 v39, 0x41a, v0
	v_lshlrev_b64 v[10:11], 3, v[10:11]
	v_add_nc_u32_e32 v48, 0x465, v0
	v_lshlrev_b64 v[15:16], 3, v[16:17]
	v_mad_u64_u32 v[17:18], null, s21, v22, v[13:14]
	v_mov_b32_e32 v13, v20
	v_mad_u64_u32 v[18:19], null, s20, v21, 0
	v_add_co_u32 v15, s1, s8, v15
	v_add_co_ci_u32_e64 v16, s1, s9, v16, s1
	v_add_nc_u32_e32 v22, 0x1c2, v0
	v_add_co_u32 v44, s1, v15, v8
	v_mov_b32_e32 v15, v17
	v_add_co_ci_u32_e64 v45, s1, v16, v9, s1
	v_lshlrev_b64 v[8:9], 3, v[12:13]
	v_mad_u64_u32 v[12:13], null, s20, v23, 0
	v_lshlrev_b64 v[14:15], 3, v[14:15]
	v_mov_b32_e32 v16, v19
	v_add_co_u32 v6, s1, v44, v6
	v_add_co_ci_u32_e64 v7, s1, v45, v7, s1
	v_mad_u64_u32 v[19:20], null, s21, v23, v[13:14]
	v_mad_u64_u32 v[16:17], null, s21, v21, v[16:17]
	v_add_co_u32 v10, s1, v44, v10
	v_add_co_ci_u32_e64 v11, s1, v45, v11, s1
	v_add_co_u32 v8, s1, v44, v8
	v_mov_b32_e32 v13, v19
	v_mov_b32_e32 v19, v16
	v_mad_u64_u32 v[16:17], null, s20, v22, 0
	v_add_co_ci_u32_e64 v9, s1, v45, v9, s1
	v_add_co_u32 v14, s1, v44, v14
	v_add_nc_u32_e32 v23, 0x20d, v0
	v_add_co_ci_u32_e64 v15, s1, v45, v15, s1
	s_clause 0x3
	global_load_dwordx2 v[28:29], v[6:7], off
	global_load_dwordx2 v[46:47], v[10:11], off
	;; [unrolled: 1-line block ×4, first 2 shown]
	v_lshlrev_b64 v[9:10], 3, v[18:19]
	v_mad_u64_u32 v[20:21], null, s20, v23, 0
	v_mov_b32_e32 v8, v17
	v_lshlrev_b64 v[6:7], 3, v[12:13]
	v_add_nc_u32_e32 v18, 0x258, v0
	v_mad_u64_u32 v[34:35], null, s20, v39, 0
	v_mad_u64_u32 v[12:13], null, s21, v22, v[8:9]
	v_mov_b32_e32 v11, v21
	v_add_co_u32 v6, s1, v44, v6
	v_add_co_ci_u32_e64 v7, s1, v45, v7, s1
	v_add_co_u32 v8, s1, v44, v9
	v_mad_u64_u32 v[13:14], null, s21, v23, v[11:12]
	v_mad_u64_u32 v[14:15], null, s20, v18, 0
	v_mov_b32_e32 v17, v12
	v_add_co_ci_u32_e64 v9, s1, v45, v10, s1
	v_add_nc_u32_e32 v49, 0x4b0, v0
	v_mov_b32_e32 v21, v13
	v_add_nc_u32_e32 v13, 0x2a3, v0
	v_mov_b32_e32 v10, v15
	v_lshlrev_b64 v[11:12], 3, v[16:17]
	v_lshlrev_b64 v[15:16], 3, v[20:21]
	v_mad_u64_u32 v[20:21], null, s20, v13, 0
	v_mad_u64_u32 v[17:18], null, s21, v18, v[10:11]
	v_add_co_u32 v10, s1, v44, v11
	v_add_co_ci_u32_e64 v11, s1, v45, v12, s1
	v_mov_b32_e32 v12, v21
	v_add_co_u32 v22, s1, v44, v15
	v_add_co_ci_u32_e64 v23, s1, v45, v16, s1
	v_mad_u64_u32 v[30:31], null, s21, v13, v[12:13]
	s_clause 0x3
	global_load_dwordx2 v[26:27], v[6:7], off
	global_load_dwordx2 v[18:19], v[8:9], off
	;; [unrolled: 1-line block ×4, first 2 shown]
	v_mov_b32_e32 v15, v17
	v_mad_u64_u32 v[16:17], null, s20, v32, 0
	v_add_nc_u32_e32 v31, 0x339, v0
	v_add_nc_u32_e32 v22, 0x384, v0
	v_lshlrev_b64 v[8:9], 3, v[14:15]
	v_mov_b32_e32 v21, v30
	v_mad_u64_u32 v[14:15], null, s20, v31, 0
	v_mov_b32_e32 v10, v17
	v_lshlrev_b64 v[20:21], 3, v[20:21]
	v_add_co_u32 v8, s1, v44, v8
	v_add_co_ci_u32_e64 v9, s1, v45, v9, s1
	v_mad_u64_u32 v[10:11], null, s21, v32, v[10:11]
	v_mov_b32_e32 v11, v15
	v_mad_u64_u32 v[32:33], null, s20, v36, 0
	v_add_co_u32 v20, s1, v44, v20
	v_add_co_ci_u32_e64 v21, s1, v45, v21, s1
	v_mov_b32_e32 v17, v10
	v_lshlrev_b64 v[16:17], 3, v[16:17]
	v_add_co_u32 v16, s1, v44, v16
	v_add_co_ci_u32_e64 v17, s1, v45, v17, s1
	s_waitcnt vmcnt(1)
	v_mad_u64_u32 v[10:11], null, s21, v31, v[11:12]
	v_mad_u64_u32 v[30:31], null, s20, v22, 0
	v_mov_b32_e32 v15, v10
	v_mov_b32_e32 v10, v31
	v_lshlrev_b64 v[14:15], 3, v[14:15]
	v_mad_u64_u32 v[10:11], null, s21, v22, v[10:11]
	v_mov_b32_e32 v11, v33
	v_add_co_u32 v22, s1, v44, v14
	v_add_co_ci_u32_e64 v23, s1, v45, v15, s1
	v_mad_u64_u32 v[36:37], null, s21, v36, v[11:12]
	v_mov_b32_e32 v31, v10
	v_mov_b32_e32 v10, v35
	v_mad_u64_u32 v[37:38], null, s20, v48, 0
	v_mad_u64_u32 v[39:40], null, s21, v39, v[10:11]
	;; [unrolled: 1-line block ×3, first 2 shown]
	s_clause 0x3
	global_load_dwordx2 v[8:9], v[8:9], off
	global_load_dwordx2 v[10:11], v[20:21], off
	;; [unrolled: 1-line block ×4, first 2 shown]
	v_mov_b32_e32 v16, v38
	v_mov_b32_e32 v33, v36
	v_lshlrev_b64 v[20:21], 3, v[30:31]
	v_mov_b32_e32 v35, v39
	v_mad_u64_u32 v[16:17], null, s21, v48, v[16:17]
	v_mov_b32_e32 v17, v41
	v_lshlrev_b64 v[30:31], 3, v[32:33]
	v_add_co_u32 v20, s1, v44, v20
	v_add_co_ci_u32_e64 v21, s1, v45, v21, s1
	v_mad_u64_u32 v[32:33], null, s21, v49, v[17:18]
	v_lshlrev_b64 v[33:34], 3, v[34:35]
	v_mov_b32_e32 v38, v16
	v_add_co_u32 v16, s1, v44, v30
	v_add_co_ci_u32_e64 v17, s1, v45, v31, s1
	v_mov_b32_e32 v41, v32
	v_lshlrev_b64 v[30:31], 3, v[37:38]
	v_add_co_u32 v32, s1, v44, v33
	v_add_co_ci_u32_e64 v33, s1, v45, v34, s1
	v_lshlrev_b64 v[34:35], 3, v[40:41]
	v_add_co_u32 v30, s1, v44, v30
	v_add_co_ci_u32_e64 v31, s1, v45, v31, s1
	v_add_co_u32 v34, s1, v44, v34
	v_add_co_ci_u32_e64 v35, s1, v45, v35, s1
	s_clause 0x4
	global_load_dwordx2 v[38:39], v[20:21], off
	global_load_dwordx2 v[44:45], v[16:17], off
	;; [unrolled: 1-line block ×5, first 2 shown]
.LBB0_10:
	s_or_b32 exec_lo, exec_lo, s14
	v_mul_hi_u32 v16, 0xaaaaaaab, v5
	v_lshrrev_b32_e32 v16, 1, v16
	v_lshl_add_u32 v16, v16, 1, v16
	v_sub_nc_u32_e32 v5, v5, v16
	v_mul_u32_u24_e32 v5, 0x4fb, v5
	v_lshlrev_b32_e32 v54, 2, v5
	s_and_saveexec_b32 s1, s0
	s_cbranch_execz .LBB0_12
; %bb.11:
	s_waitcnt vmcnt(0)
	v_sub_f32_e32 v35, v47, v51
	v_add_f32_e32 v21, v46, v50
	v_sub_f32_e32 v33, v43, v53
	v_add_f32_e32 v30, v42, v52
	v_sub_f32_e32 v34, v25, v49
	v_mul_f32_e32 v36, 0xbe3c28d5, v35
	v_add_f32_e32 v17, v24, v48
	v_mul_f32_e32 v37, 0x3eb8f4ab, v33
	v_sub_f32_e32 v31, v27, v45
	v_mul_f32_e32 v40, 0xbf06c442, v34
	v_fmamk_f32 v20, v21, 0xbf7ba420, v36
	v_fma_f32 v36, 0xbf7ba420, v21, -v36
	v_fmamk_f32 v41, v30, 0x3f6eb680, v37
	v_fma_f32 v37, 0x3f6eb680, v30, -v37
	v_add_f32_e32 v5, v26, v44
	v_add_f32_e32 v55, v28, v20
	;; [unrolled: 1-line block ×3, first 2 shown]
	v_sub_f32_e32 v32, v19, v39
	v_mul_f32_e32 v56, 0x3f2c7751, v31
	v_fmamk_f32 v57, v17, 0xbf59a7d5, v40
	v_add_f32_e32 v41, v55, v41
	v_fma_f32 v40, 0xbf59a7d5, v17, -v40
	v_add_f32_e32 v36, v36, v37
	v_add_f32_e32 v16, v18, v38
	v_mul_f32_e32 v55, 0xbf4c4adb, v32
	v_fmamk_f32 v58, v5, 0x3f3d2fb0, v56
	v_add_f32_e32 v57, v41, v57
	v_sub_f32_e32 v41, v13, v23
	v_fma_f32 v56, 0x3f3d2fb0, v5, -v56
	v_add_f32_e32 v60, v36, v40
	v_mul_f32_e32 v62, 0xbf06c442, v35
	v_add_f32_e32 v20, v12, v22
	v_fmamk_f32 v59, v16, 0xbf1a4643, v55
	v_add_f32_e32 v57, v57, v58
	v_mul_f32_e32 v58, 0x3f65296c, v41
	v_sub_f32_e32 v37, v7, v15
	v_add_f32_e32 v56, v60, v56
	v_fma_f32 v60, 0xbf1a4643, v16, -v55
	v_fmamk_f32 v63, v21, 0xbf59a7d5, v62
	v_mul_f32_e32 v64, 0x3f65296c, v33
	v_add_f32_e32 v57, v57, v59
	v_fmamk_f32 v59, v20, 0x3ee437d1, v58
	v_add_f32_e32 v36, v6, v14
	v_mul_f32_e32 v61, 0xbf763a35, v37
	v_sub_f32_e32 v40, v9, v11
	v_add_f32_e32 v56, v56, v60
	v_add_f32_e32 v60, v28, v63
	v_fmamk_f32 v63, v30, 0x3ee437d1, v64
	v_mul_f32_e32 v66, 0xbf7ee86f, v34
	v_add_f32_e32 v57, v57, v59
	v_fmamk_f32 v59, v36, 0xbe8c1d8e, v61
	v_add_f32_e32 v55, v8, v10
	v_mul_f32_e32 v65, 0x3f7ee86f, v40
	v_fma_f32 v58, 0x3ee437d1, v20, -v58
	v_add_f32_e32 v60, v60, v63
	v_fmamk_f32 v63, v17, 0x3dbcf732, v66
	v_mul_f32_e32 v67, 0x3f4c4adb, v31
	v_add_f32_e32 v57, v57, v59
	v_fmamk_f32 v59, v55, 0x3dbcf732, v65
	v_add_f32_e32 v56, v56, v58
	v_fma_f32 v58, 0xbe8c1d8e, v36, -v61
	v_fma_f32 v61, 0xbf59a7d5, v21, -v62
	v_add_f32_e32 v60, v60, v63
	v_fmamk_f32 v62, v5, 0xbf1a4643, v67
	v_mul_f32_e32 v63, 0xbeb8f4ab, v32
	v_add_f32_e32 v57, v57, v59
	v_add_f32_e32 v59, v28, v61
	v_fma_f32 v61, 0x3ee437d1, v30, -v64
	v_add_f32_e32 v60, v60, v62
	v_fmamk_f32 v62, v16, 0x3f6eb680, v63
	v_mul_f32_e32 v64, 0xbe3c28d5, v41
	v_add_f32_e32 v56, v56, v58
	v_add_f32_e32 v58, v59, v61
	v_fma_f32 v59, 0x3dbcf732, v17, -v66
	v_add_f32_e32 v60, v60, v62
	v_fmamk_f32 v61, v20, 0xbf7ba420, v64
	v_mul_f32_e32 v62, 0xbf4c4adb, v35
	v_mul_f32_e32 v69, 0xbeb8f4ab, v34
	v_add_f32_e32 v58, v58, v59
	v_fma_f32 v59, 0xbf1a4643, v5, -v67
	v_add_f32_e32 v60, v60, v61
	v_fmamk_f32 v61, v21, 0xbf1a4643, v62
	v_mul_f32_e32 v67, 0x3f763a35, v33
	v_mul_f32_e32 v66, 0x3f2c7751, v37
	v_add_f32_e32 v58, v58, v59
	v_fma_f32 v59, 0x3f6eb680, v16, -v63
	v_add_f32_e32 v61, v28, v61
	v_fmamk_f32 v63, v30, 0xbe8c1d8e, v67
	v_fmamk_f32 v68, v36, 0x3f3d2fb0, v66
	v_fma_f32 v65, 0x3dbcf732, v55, -v65
	v_add_f32_e32 v58, v58, v59
	v_fma_f32 v59, 0xbf7ba420, v20, -v64
	v_add_f32_e32 v61, v61, v63
	v_fmamk_f32 v63, v17, 0x3f6eb680, v69
	v_mul_f32_e32 v64, 0xbf06c442, v31
	v_add_f32_e32 v60, v60, v68
	v_add_f32_e32 v58, v58, v59
	v_mul_f32_e32 v68, 0xbf763a35, v40
	v_add_f32_e32 v59, v61, v63
	v_fmamk_f32 v61, v5, 0xbf59a7d5, v64
	v_mul_f32_e32 v63, 0x3f7ee86f, v32
	v_fma_f32 v66, 0x3f3d2fb0, v36, -v66
	v_add_f32_e32 v56, v56, v65
	v_mul_f32_e32 v65, 0xbf2c7751, v41
	v_add_f32_e32 v59, v59, v61
	v_fmamk_f32 v61, v16, 0x3dbcf732, v63
	v_fma_f32 v62, 0xbf1a4643, v21, -v62
	v_fmamk_f32 v70, v55, 0xbe8c1d8e, v68
	v_add_f32_e32 v58, v58, v66
	v_mul_f32_e32 v66, 0xbe3c28d5, v37
	v_add_f32_e32 v59, v59, v61
	v_fmamk_f32 v61, v20, 0x3f3d2fb0, v65
	v_add_f32_e32 v62, v28, v62
	v_fma_f32 v67, 0xbe8c1d8e, v30, -v67
	v_add_f32_e32 v60, v60, v70
	v_fma_f32 v68, 0xbe8c1d8e, v55, -v68
	v_add_f32_e32 v59, v59, v61
	v_fmamk_f32 v61, v36, 0xbf7ba420, v66
	v_mul_f32_e32 v70, 0xbf763a35, v35
	v_add_f32_e32 v62, v62, v67
	v_fma_f32 v67, 0x3f6eb680, v17, -v69
	v_add_f32_e32 v58, v58, v68
	v_add_f32_e32 v59, v59, v61
	v_fmamk_f32 v61, v21, 0xbe8c1d8e, v70
	v_mul_f32_e32 v68, 0x3f06c442, v33
	v_add_f32_e32 v62, v62, v67
	v_fma_f32 v64, 0xbf59a7d5, v5, -v64
	v_mul_f32_e32 v67, 0x3f65296c, v40
	v_add_f32_e32 v61, v28, v61
	v_fmamk_f32 v69, v30, 0xbf59a7d5, v68
	v_mul_f32_e32 v71, 0x3f2c7751, v34
	v_add_f32_e32 v62, v62, v64
	v_fma_f32 v63, 0x3dbcf732, v16, -v63
	v_fmamk_f32 v64, v55, 0x3ee437d1, v67
	v_add_f32_e32 v61, v61, v69
	v_fmamk_f32 v69, v17, 0x3f3d2fb0, v71
	v_mul_f32_e32 v72, 0xbf65296c, v31
	v_add_f32_e32 v62, v62, v63
	v_fma_f32 v63, 0x3f3d2fb0, v20, -v65
	v_add_f32_e32 v59, v59, v64
	v_add_f32_e32 v61, v61, v69
	v_fmamk_f32 v64, v5, 0x3ee437d1, v72
	v_mul_f32_e32 v65, 0xbe3c28d5, v32
	v_add_f32_e32 v62, v62, v63
	v_fma_f32 v63, 0xbf7ba420, v36, -v66
	v_fma_f32 v66, 0xbe8c1d8e, v21, -v70
	v_add_f32_e32 v61, v61, v64
	v_fmamk_f32 v64, v16, 0xbf7ba420, v65
	v_mul_f32_e32 v69, 0x3f7ee86f, v41
	v_add_f32_e32 v62, v62, v63
	v_add_f32_e32 v63, v28, v66
	v_fma_f32 v66, 0xbf59a7d5, v30, -v68
	v_add_f32_e32 v61, v61, v64
	v_fmamk_f32 v64, v20, 0x3dbcf732, v69
	v_mul_f32_e32 v68, 0xbeb8f4ab, v37
	v_fma_f32 v67, 0x3ee437d1, v55, -v67
	v_add_f32_e32 v63, v63, v66
	v_fma_f32 v66, 0x3f3d2fb0, v17, -v71
	v_add_f32_e32 v61, v61, v64
	v_fmamk_f32 v64, v36, 0x3f6eb680, v68
	v_add_f32_e32 v62, v62, v67
	v_mul_f32_e32 v67, 0xbf7ee86f, v35
	v_add_f32_e32 v63, v63, v66
	v_fma_f32 v66, 0x3ee437d1, v5, -v72
	v_add_f32_e32 v61, v61, v64
	v_mul_f32_e32 v64, 0xbf4c4adb, v40
	v_fmamk_f32 v70, v21, 0x3dbcf732, v67
	v_mul_f32_e32 v71, 0xbe3c28d5, v33
	v_add_f32_e32 v63, v63, v66
	v_fma_f32 v65, 0xbf7ba420, v16, -v65
	v_fmamk_f32 v66, v55, 0xbf1a4643, v64
	v_add_f32_e32 v70, v28, v70
	v_fmamk_f32 v72, v30, 0xbf7ba420, v71
	v_mul_f32_e32 v73, 0x3f763a35, v34
	v_add_f32_e32 v63, v63, v65
	v_fma_f32 v65, 0x3dbcf732, v20, -v69
	v_add_f32_e32 v61, v61, v66
	v_add_f32_e32 v66, v70, v72
	v_fmamk_f32 v69, v17, 0xbe8c1d8e, v73
	v_mul_f32_e32 v70, 0x3eb8f4ab, v31
	v_add_f32_e32 v63, v63, v65
	v_fma_f32 v65, 0x3f6eb680, v36, -v68
	v_fma_f32 v67, 0x3dbcf732, v21, -v67
	v_add_f32_e32 v66, v66, v69
	v_fmamk_f32 v68, v5, 0x3f6eb680, v70
	v_mul_f32_e32 v69, 0xbf65296c, v32
	v_add_f32_e32 v63, v63, v65
	v_add_f32_e32 v65, v28, v67
	v_fma_f32 v67, 0xbf7ba420, v30, -v71
	v_add_f32_e32 v66, v66, v68
	v_fmamk_f32 v68, v16, 0x3ee437d1, v69
	v_mul_f32_e32 v71, 0xbf06c442, v41
	v_fma_f32 v64, 0xbf1a4643, v55, -v64
	v_add_f32_e32 v65, v65, v67
	v_fma_f32 v67, 0xbe8c1d8e, v17, -v73
	v_add_f32_e32 v66, v66, v68
	v_fmamk_f32 v68, v20, 0xbf59a7d5, v71
	v_mul_f32_e32 v72, 0x3f4c4adb, v37
	v_add_f32_e32 v63, v63, v64
	v_add_f32_e32 v64, v65, v67
	v_fma_f32 v65, 0x3f6eb680, v5, -v70
	v_add_f32_e32 v66, v66, v68
	v_fmamk_f32 v67, v36, 0xbf1a4643, v72
	v_mul_f32_e32 v68, 0x3f2c7751, v40
	v_mul_f32_e32 v70, 0xbf65296c, v35
	v_add_f32_e32 v64, v64, v65
	v_fma_f32 v65, 0x3ee437d1, v16, -v69
	v_add_f32_e32 v66, v66, v67
	v_fmamk_f32 v67, v55, 0x3f3d2fb0, v68
	v_fmamk_f32 v69, v21, 0x3ee437d1, v70
	v_mul_f32_e32 v73, 0xbf4c4adb, v33
	v_add_f32_e32 v64, v64, v65
	v_fma_f32 v65, 0xbf59a7d5, v20, -v71
	v_add_f32_e32 v66, v66, v67
	v_add_f32_e32 v67, v28, v69
	v_fmamk_f32 v69, v30, 0xbf1a4643, v73
	v_mul_f32_e32 v71, 0x3e3c28d5, v34
	v_add_f32_e32 v64, v64, v65
	v_fma_f32 v65, 0xbf1a4643, v36, -v72
	v_fma_f32 v70, 0x3ee437d1, v21, -v70
	v_add_f32_e32 v67, v67, v69
	v_fmamk_f32 v69, v17, 0xbf7ba420, v71
	v_mul_f32_e32 v72, 0x3f763a35, v31
	v_add_f32_e32 v64, v64, v65
	v_add_f32_e32 v65, v28, v70
	v_fma_f32 v70, 0xbf1a4643, v30, -v73
	v_add_f32_e32 v67, v67, v69
	v_fmamk_f32 v69, v5, 0xbe8c1d8e, v72
	v_mul_f32_e32 v73, 0x3f2c7751, v32
	v_fma_f32 v68, 0x3f3d2fb0, v55, -v68
	v_add_f32_e32 v65, v65, v70
	v_fma_f32 v70, 0xbf7ba420, v17, -v71
	v_add_f32_e32 v67, v67, v69
	v_fmamk_f32 v69, v16, 0x3f3d2fb0, v73
	v_mul_f32_e32 v71, 0xbeb8f4ab, v41
	v_add_f32_e32 v64, v64, v68
	v_add_f32_e32 v65, v65, v70
	v_fma_f32 v68, 0xbe8c1d8e, v5, -v72
	v_add_f32_e32 v67, v67, v69
	v_fmamk_f32 v69, v20, 0x3f6eb680, v71
	v_mul_f32_e32 v70, 0xbf7ee86f, v37
	v_mul_f32_e32 v72, 0xbf2c7751, v35
	v_add_f32_e32 v65, v65, v68
	v_fma_f32 v68, 0x3f3d2fb0, v16, -v73
	v_add_f32_e32 v67, v67, v69
	v_fmamk_f32 v69, v36, 0x3dbcf732, v70
	v_fmamk_f32 v73, v21, 0x3f3d2fb0, v72
	v_mul_f32_e32 v74, 0xbf7ee86f, v33
	v_add_f32_e32 v65, v65, v68
	v_fma_f32 v68, 0x3f6eb680, v20, -v71
	v_add_f32_e32 v67, v67, v69
	v_add_f32_e32 v69, v28, v73
	v_fmamk_f32 v71, v30, 0x3dbcf732, v74
	v_mul_f32_e32 v73, 0xbf4c4adb, v34
	v_add_f32_e32 v65, v65, v68
	v_fma_f32 v68, 0x3dbcf732, v36, -v70
	v_mul_f32_e32 v70, 0xbf06c442, v40
	v_add_f32_e32 v69, v69, v71
	v_fmamk_f32 v71, v17, 0xbf1a4643, v73
	v_mul_f32_e32 v75, 0xbe3c28d5, v31
	v_add_f32_e32 v65, v65, v68
	v_fma_f32 v68, 0x3f3d2fb0, v21, -v72
	v_fma_f32 v72, 0xbf59a7d5, v55, -v70
	v_add_f32_e32 v69, v69, v71
	v_fmamk_f32 v71, v5, 0xbf7ba420, v75
	v_mul_f32_e32 v76, 0x3f06c442, v32
	v_add_f32_e32 v68, v28, v68
	v_fma_f32 v74, 0x3dbcf732, v30, -v74
	v_add_f32_e32 v65, v65, v72
	v_add_f32_e32 v69, v69, v71
	v_fmamk_f32 v71, v16, 0xbf59a7d5, v76
	v_mul_f32_e32 v72, 0x3f763a35, v41
	v_add_f32_e32 v68, v68, v74
	v_add_f32_e32 v74, v28, v46
	v_fma_f32 v73, 0xbf1a4643, v17, -v73
	v_add_f32_e32 v69, v69, v71
	v_fmamk_f32 v71, v20, 0xbe8c1d8e, v72
	v_mul_f32_e32 v35, 0xbeb8f4ab, v35
	v_add_f32_e32 v74, v74, v42
	v_mul_f32_e32 v33, 0xbf2c7751, v33
	v_add_f32_e32 v68, v68, v73
	v_add_f32_e32 v69, v69, v71
	v_fma_f32 v73, 0xbf7ba420, v5, -v75
	v_add_f32_e32 v71, v74, v24
	v_fmamk_f32 v75, v21, 0x3f6eb680, v35
	v_fma_f32 v21, 0x3f6eb680, v21, -v35
	v_fmamk_f32 v35, v30, 0x3f3d2fb0, v33
	v_fma_f32 v30, 0x3f3d2fb0, v30, -v33
	v_add_f32_e32 v71, v71, v26
	v_add_f32_e32 v68, v68, v73
	v_fma_f32 v73, 0xbf59a7d5, v16, -v76
	v_add_f32_e32 v21, v28, v21
	v_mul_f32_e32 v34, 0xbf65296c, v34
	v_add_f32_e32 v71, v71, v18
	v_mul_f32_e32 v77, 0x3f65296c, v37
	v_add_f32_e32 v68, v68, v73
	v_add_f32_e32 v73, v28, v75
	;; [unrolled: 1-line block ×4, first 2 shown]
	v_mul_f32_e32 v30, 0xbf7ee86f, v31
	v_fma_f32 v28, 0xbe8c1d8e, v20, -v72
	v_add_f32_e32 v35, v73, v35
	v_fmamk_f32 v71, v17, 0x3ee437d1, v34
	v_add_f32_e32 v33, v33, v6
	v_fma_f32 v17, 0x3ee437d1, v17, -v34
	v_add_f32_e32 v28, v68, v28
	v_fmamk_f32 v34, v5, 0x3dbcf732, v30
	v_fma_f32 v5, 0x3dbcf732, v5, -v30
	v_add_f32_e32 v31, v33, v8
	v_add_f32_e32 v33, v35, v71
	;; [unrolled: 1-line block ×3, first 2 shown]
	v_mul_f32_e32 v21, 0xbf763a35, v32
	v_fma_f32 v30, 0x3ee437d1, v36, -v77
	v_add_f32_e32 v31, v31, v10
	v_add_f32_e32 v32, v33, v34
	;; [unrolled: 1-line block ×3, first 2 shown]
	v_fmamk_f32 v33, v16, 0xbe8c1d8e, v21
	v_fma_f32 v16, 0xbe8c1d8e, v16, -v21
	v_add_f32_e32 v31, v14, v31
	v_mul_f32_e32 v17, 0xbf4c4adb, v41
	v_add_f32_e32 v21, v28, v30
	v_add_f32_e32 v30, v32, v33
	;; [unrolled: 1-line block ×4, first 2 shown]
	v_fmamk_f32 v16, v20, 0xbf1a4643, v17
	v_fma_f32 v17, 0xbf1a4643, v20, -v17
	v_mul_f32_e32 v31, 0xbf06c442, v37
	v_mul_f32_e32 v32, 0xbe3c28d5, v40
	v_add_f32_e32 v20, v38, v28
	v_add_f32_e32 v16, v30, v16
	v_add_f32_e32 v5, v5, v17
	v_fmamk_f32 v17, v36, 0xbf59a7d5, v31
	v_fma_f32 v31, 0xbf59a7d5, v36, -v31
	v_add_f32_e32 v20, v44, v20
	v_mul_f32_e32 v30, 0x3eb8f4ab, v40
	v_fmamk_f32 v74, v36, 0x3ee437d1, v77
	v_add_f32_e32 v16, v16, v17
	v_add_f32_e32 v5, v5, v31
	;; [unrolled: 1-line block ×3, first 2 shown]
	v_fma_f32 v17, 0xbf7ba420, v55, -v32
	v_mul_u32_u24_e32 v31, 0x44, v0
	v_fmamk_f32 v33, v55, 0x3f6eb680, v30
	v_fma_f32 v30, 0x3f6eb680, v55, -v30
	v_add_f32_e32 v20, v52, v20
	v_add_f32_e32 v69, v69, v74
	v_fmamk_f32 v28, v55, 0xbf59a7d5, v70
	v_fmamk_f32 v32, v55, 0xbf7ba420, v32
	v_add_f32_e32 v5, v5, v17
	v_add_f32_e32 v17, v50, v20
	v_add3_u32 v20, 0, v31, v54
	v_add_f32_e32 v21, v21, v30
	v_add_f32_e32 v28, v67, v28
	;; [unrolled: 1-line block ×4, first 2 shown]
	ds_write2_b32 v20, v17, v5 offset1:1
	ds_write2_b32 v20, v21, v65 offset0:2 offset1:3
	ds_write2_b32 v20, v64, v63 offset0:4 offset1:5
	;; [unrolled: 1-line block ×7, first 2 shown]
	ds_write_b32 v20, v16 offset:64
.LBB0_12:
	s_or_b32 exec_lo, exec_lo, s1
	v_lshlrev_b32_e32 v5, 2, v0
	s_waitcnt vmcnt(0) lgkmcnt(0)
	s_barrier
	buffer_gl0_inv
	v_add_nc_u32_e32 v63, 0, v5
	v_add3_u32 v28, 0, v54, v5
	v_add_nc_u32_e32 v55, v63, v54
	ds_read_b32 v62, v28
	v_add_nc_u32_e32 v56, 0x400, v55
	v_add_nc_u32_e32 v57, 0xa00, v55
	;; [unrolled: 1-line block ×5, first 2 shown]
	ds_read2_b32 v[16:17], v55 offset0:85 offset1:170
	v_add_nc_u32_e32 v60, 0x1000, v55
	ds_read2_b32 v[34:35], v56 offset0:169 offset1:254
	ds_read2_b32 v[40:41], v57 offset0:125 offset1:210
	;; [unrolled: 1-line block ×6, first 2 shown]
	s_waitcnt lgkmcnt(0)
	s_barrier
	buffer_gl0_inv
	s_and_saveexec_b32 s1, s0
	s_cbranch_execz .LBB0_14
; %bb.13:
	v_add_f32_e32 v64, v29, v47
	v_sub_f32_e32 v46, v46, v50
	v_add_f32_e32 v50, v43, v53
	v_add_f32_e32 v47, v47, v51
	v_sub_f32_e32 v42, v42, v52
	v_add_f32_e32 v43, v64, v43
	v_mul_f32_e32 v52, 0xbeb8f4ab, v46
	v_mul_f32_e32 v64, 0xbf2c7751, v46
	;; [unrolled: 1-line block ×4, first 2 shown]
	v_add_f32_e32 v43, v43, v25
	v_mul_f32_e32 v67, 0xbf763a35, v46
	v_mul_f32_e32 v68, 0xbf4c4adb, v46
	;; [unrolled: 1-line block ×4, first 2 shown]
	v_add_f32_e32 v43, v43, v27
	v_mul_f32_e32 v70, 0xbf2c7751, v42
	v_mul_f32_e32 v71, 0xbf7ee86f, v42
	v_fmamk_f32 v75, v47, 0x3f6eb680, v52
	v_fma_f32 v52, 0x3f6eb680, v47, -v52
	v_add_f32_e32 v43, v43, v19
	v_fmamk_f32 v76, v47, 0x3f3d2fb0, v64
	v_fma_f32 v64, 0x3f3d2fb0, v47, -v64
	v_mul_f32_e32 v73, 0xbe3c28d5, v42
	v_mul_f32_e32 v74, 0x3f06c442, v42
	v_add_f32_e32 v43, v43, v13
	v_fmamk_f32 v77, v47, 0x3ee437d1, v65
	v_fma_f32 v65, 0x3ee437d1, v47, -v65
	v_fmamk_f32 v78, v47, 0x3dbcf732, v66
	v_fma_f32 v66, 0x3dbcf732, v47, -v66
	v_add_f32_e32 v43, v43, v7
	v_fmamk_f32 v79, v47, 0xbe8c1d8e, v67
	v_fma_f32 v67, 0xbe8c1d8e, v47, -v67
	v_fmamk_f32 v80, v47, 0xbf1a4643, v68
	v_fma_f32 v68, 0xbf1a4643, v47, -v68
	;; [unrolled: 5-line block ×4, first 2 shown]
	v_add_f32_e32 v43, v15, v43
	v_add_f32_e32 v75, v29, v75
	;; [unrolled: 1-line block ×23, first 2 shown]
	v_fma_f32 v70, 0xbf7ba420, v50, -v73
	v_mul_f32_e32 v72, 0xbf4c4adb, v42
	v_add_f32_e32 v43, v53, v43
	v_add_f32_e32 v53, v64, v71
	v_mul_f32_e32 v71, 0x3f763a35, v42
	v_add_f32_e32 v66, v66, v70
	v_sub_f32_e32 v24, v24, v48
	v_add_f32_e32 v43, v51, v43
	v_fmamk_f32 v51, v50, 0xbf7ba420, v73
	v_fma_f32 v73, 0xbf59a7d5, v50, -v74
	v_fmamk_f32 v70, v50, 0xbe8c1d8e, v71
	v_fma_f32 v71, 0xbe8c1d8e, v50, -v71
	;; [unrolled: 2-line block ×3, first 2 shown]
	v_add_f32_e32 v67, v67, v73
	v_mul_f32_e32 v73, 0x3f65296c, v42
	v_mul_f32_e32 v42, 0x3eb8f4ab, v42
	v_add_f32_e32 v68, v68, v71
	v_add_f32_e32 v25, v25, v49
	v_mul_f32_e32 v49, 0xbf65296c, v24
	v_fmamk_f32 v48, v50, 0x3ee437d1, v73
	v_fma_f32 v71, 0x3ee437d1, v50, -v73
	v_fmamk_f32 v73, v50, 0x3f6eb680, v42
	v_fma_f32 v42, 0x3f6eb680, v50, -v42
	v_add_f32_e32 v65, v65, v72
	v_fmamk_f32 v72, v50, 0xbf59a7d5, v74
	v_add_f32_e32 v50, v69, v71
	v_add_f32_e32 v69, v82, v73
	v_fmamk_f32 v71, v25, 0x3ee437d1, v49
	v_mul_f32_e32 v73, 0xbf4c4adb, v24
	v_add_f32_e32 v29, v29, v42
	v_fma_f32 v42, 0x3ee437d1, v25, -v49
	v_mul_f32_e32 v49, 0x3e3c28d5, v24
	v_add_f32_e32 v46, v46, v71
	v_fmamk_f32 v71, v25, 0xbf1a4643, v73
	v_fma_f32 v73, 0xbf1a4643, v25, -v73
	v_add_f32_e32 v42, v47, v42
	v_fmamk_f32 v47, v25, 0xbf7ba420, v49
	v_mul_f32_e32 v74, 0x3f763a35, v24
	v_fma_f32 v49, 0xbf7ba420, v25, -v49
	v_add_f32_e32 v52, v76, v83
	v_add_f32_e32 v64, v77, v84
	;; [unrolled: 1-line block ×3, first 2 shown]
	v_fma_f32 v73, 0xbe8c1d8e, v25, -v74
	v_add_f32_e32 v49, v65, v49
	v_mul_f32_e32 v65, 0xbeb8f4ab, v24
	v_add_f32_e32 v51, v78, v51
	v_add_f32_e32 v52, v52, v71
	v_add_f32_e32 v47, v64, v47
	v_fmamk_f32 v64, v25, 0xbe8c1d8e, v74
	v_mul_f32_e32 v71, 0x3f2c7751, v24
	v_add_f32_e32 v66, v66, v73
	v_fmamk_f32 v73, v25, 0x3f6eb680, v65
	v_mul_f32_e32 v74, 0xbf7ee86f, v24
	v_fma_f32 v65, 0x3f6eb680, v25, -v65
	v_mul_f32_e32 v24, 0xbf06c442, v24
	v_sub_f32_e32 v26, v26, v44
	v_add_f32_e32 v51, v51, v64
	v_fmamk_f32 v64, v25, 0x3f3d2fb0, v71
	v_fma_f32 v71, 0x3f3d2fb0, v25, -v71
	v_add_f32_e32 v65, v68, v65
	v_fma_f32 v44, 0x3dbcf732, v25, -v74
	v_fmamk_f32 v68, v25, 0xbf59a7d5, v24
	v_add_f32_e32 v27, v27, v45
	v_mul_f32_e32 v45, 0xbf7ee86f, v26
	v_fma_f32 v24, 0xbf59a7d5, v25, -v24
	v_add_f32_e32 v67, v67, v71
	v_fmamk_f32 v71, v25, 0x3dbcf732, v74
	v_add_f32_e32 v44, v50, v44
	v_add_f32_e32 v25, v69, v68
	v_mul_f32_e32 v50, 0xbe3c28d5, v26
	v_fmamk_f32 v68, v27, 0x3dbcf732, v45
	v_fma_f32 v45, 0x3dbcf732, v27, -v45
	v_add_f32_e32 v24, v29, v24
	v_mul_f32_e32 v29, 0x3f763a35, v26
	v_fmamk_f32 v69, v27, 0xbf7ba420, v50
	v_add_f32_e32 v46, v46, v68
	v_add_f32_e32 v42, v42, v45
	v_fma_f32 v45, 0xbf7ba420, v27, -v50
	v_fmamk_f32 v50, v27, 0xbe8c1d8e, v29
	v_mul_f32_e32 v68, 0x3eb8f4ab, v26
	v_fma_f32 v29, 0xbe8c1d8e, v27, -v29
	v_add_f32_e32 v52, v52, v69
	v_add_f32_e32 v45, v53, v45
	;; [unrolled: 1-line block ×3, first 2 shown]
	v_mul_f32_e32 v50, 0xbf65296c, v26
	v_fmamk_f32 v53, v27, 0x3f6eb680, v68
	v_add_f32_e32 v29, v49, v29
	v_fma_f32 v49, 0x3f6eb680, v27, -v68
	v_mul_f32_e32 v68, 0xbf06c442, v26
	v_fmamk_f32 v69, v27, 0x3ee437d1, v50
	v_fma_f32 v50, 0x3ee437d1, v27, -v50
	v_add_f32_e32 v48, v81, v48
	v_add_f32_e32 v49, v66, v49
	v_fma_f32 v66, 0xbf59a7d5, v27, -v68
	v_sub_f32_e32 v18, v18, v38
	v_add_f32_e32 v50, v67, v50
	v_mul_f32_e32 v67, 0x3f4c4adb, v26
	v_mul_f32_e32 v26, 0x3f2c7751, v26
	v_add_f32_e32 v48, v48, v71
	v_add_f32_e32 v65, v65, v66
	;; [unrolled: 1-line block ×3, first 2 shown]
	v_fmamk_f32 v38, v27, 0xbf1a4643, v67
	v_fma_f32 v66, 0xbf1a4643, v27, -v67
	v_fmamk_f32 v67, v27, 0x3f3d2fb0, v26
	v_mul_f32_e32 v39, 0xbf763a35, v18
	v_fma_f32 v26, 0x3f3d2fb0, v27, -v26
	v_add_f32_e32 v51, v51, v53
	v_fmamk_f32 v53, v27, 0xbf59a7d5, v68
	v_add_f32_e32 v38, v48, v38
	v_add_f32_e32 v27, v44, v66
	v_fmamk_f32 v44, v19, 0xbe8c1d8e, v39
	v_mul_f32_e32 v48, 0x3f06c442, v18
	v_add_f32_e32 v24, v24, v26
	v_fma_f32 v26, 0xbe8c1d8e, v19, -v39
	v_mul_f32_e32 v39, 0x3f2c7751, v18
	v_add_f32_e32 v70, v80, v70
	v_add_f32_e32 v44, v46, v44
	v_fmamk_f32 v46, v19, 0xbf59a7d5, v48
	v_fma_f32 v48, 0xbf59a7d5, v19, -v48
	v_add_f32_e32 v26, v42, v26
	v_fmamk_f32 v42, v19, 0x3f3d2fb0, v39
	v_mul_f32_e32 v66, 0xbf65296c, v18
	v_fma_f32 v39, 0x3f3d2fb0, v19, -v39
	v_add_f32_e32 v70, v70, v73
	v_add_f32_e32 v46, v52, v46
	;; [unrolled: 1-line block ×4, first 2 shown]
	v_fmamk_f32 v47, v19, 0x3ee437d1, v66
	v_mul_f32_e32 v48, 0xbe3c28d5, v18
	v_fma_f32 v52, 0x3ee437d1, v19, -v66
	v_add_f32_e32 v29, v29, v39
	v_mul_f32_e32 v39, 0x3f7ee86f, v18
	v_add_f32_e32 v53, v70, v53
	v_add_f32_e32 v47, v51, v47
	v_fmamk_f32 v51, v19, 0xbf7ba420, v48
	v_add_f32_e32 v49, v49, v52
	v_fma_f32 v48, 0xbf7ba420, v19, -v48
	v_fmamk_f32 v52, v19, 0x3dbcf732, v39
	v_mul_f32_e32 v66, 0xbeb8f4ab, v18
	v_mul_f32_e32 v18, 0xbf4c4adb, v18
	v_sub_f32_e32 v12, v12, v22
	v_add_f32_e32 v48, v50, v48
	v_add_f32_e32 v50, v53, v52
	v_fmamk_f32 v52, v19, 0x3f6eb680, v66
	v_add_f32_e32 v25, v25, v67
	v_fma_f32 v22, 0x3f6eb680, v19, -v66
	v_add_f32_e32 v13, v13, v23
	v_mul_f32_e32 v23, 0xbf4c4adb, v12
	v_add_f32_e32 v38, v38, v52
	v_fmamk_f32 v52, v19, 0xbf1a4643, v18
	v_fma_f32 v18, 0xbf1a4643, v19, -v18
	v_fma_f32 v39, 0x3dbcf732, v19, -v39
	v_add_f32_e32 v22, v27, v22
	v_fmamk_f32 v27, v13, 0xbf1a4643, v23
	v_add_f32_e32 v19, v25, v52
	v_mul_f32_e32 v25, 0x3f763a35, v12
	v_fma_f32 v23, 0xbf1a4643, v13, -v23
	v_add_f32_e32 v18, v24, v18
	v_mul_f32_e32 v24, 0xbeb8f4ab, v12
	v_add_f32_e32 v27, v44, v27
	v_fmamk_f32 v52, v13, 0xbe8c1d8e, v25
	v_add_f32_e32 v23, v26, v23
	v_fma_f32 v25, 0xbe8c1d8e, v13, -v25
	v_fmamk_f32 v26, v13, 0x3f6eb680, v24
	v_fma_f32 v24, 0x3f6eb680, v13, -v24
	v_add_f32_e32 v44, v46, v52
	v_mul_f32_e32 v46, 0xbf06c442, v12
	v_add_f32_e32 v25, v45, v25
	v_add_f32_e32 v26, v42, v26
	v_mul_f32_e32 v42, 0x3f7ee86f, v12
	v_add_f32_e32 v24, v29, v24
	v_fmamk_f32 v45, v13, 0xbf59a7d5, v46
	v_fma_f32 v29, 0xbf59a7d5, v13, -v46
	v_mul_f32_e32 v46, 0xbf2c7751, v12
	v_fmamk_f32 v52, v13, 0x3dbcf732, v42
	v_fma_f32 v42, 0x3dbcf732, v13, -v42
	v_add_f32_e32 v39, v65, v39
	v_add_f32_e32 v45, v47, v45
	v_fmamk_f32 v47, v13, 0x3f3d2fb0, v46
	v_fma_f32 v46, 0x3f3d2fb0, v13, -v46
	v_add_f32_e32 v42, v48, v42
	v_mul_f32_e32 v48, 0xbe3c28d5, v12
	v_mul_f32_e32 v12, 0x3f65296c, v12
	v_sub_f32_e32 v6, v6, v14
	v_add_f32_e32 v39, v39, v46
	v_add_f32_e32 v7, v7, v15
	v_fmamk_f32 v14, v13, 0xbf7ba420, v48
	v_fma_f32 v46, 0xbf7ba420, v13, -v48
	v_fmamk_f32 v48, v13, 0x3ee437d1, v12
	v_mul_f32_e32 v15, 0xbf06c442, v6
	v_fma_f32 v12, 0x3ee437d1, v13, -v12
	v_add_f32_e32 v14, v38, v14
	v_add_f32_e32 v13, v22, v46
	v_mul_f32_e32 v38, 0x3f65296c, v6
	v_fmamk_f32 v22, v7, 0xbf59a7d5, v15
	v_add_f32_e32 v12, v18, v12
	v_fma_f32 v15, 0xbf59a7d5, v7, -v15
	v_mul_f32_e32 v18, 0xbf7ee86f, v6
	v_mul_f32_e32 v46, 0x3f4c4adb, v6
	v_add_f32_e32 v22, v27, v22
	v_fmamk_f32 v27, v7, 0x3ee437d1, v38
	v_add_f32_e32 v15, v23, v15
	v_fmamk_f32 v23, v7, 0x3dbcf732, v18
	v_fma_f32 v18, 0x3dbcf732, v7, -v18
	v_add_f32_e32 v29, v49, v29
	v_fma_f32 v38, 0x3ee437d1, v7, -v38
	v_add_f32_e32 v27, v44, v27
	;; [unrolled: 2-line block ×3, first 2 shown]
	v_mul_f32_e32 v24, 0xbe3c28d5, v6
	v_add_f32_e32 v23, v26, v23
	v_fmamk_f32 v26, v7, 0xbf1a4643, v46
	v_mul_f32_e32 v46, 0x3f2c7751, v6
	v_add_f32_e32 v25, v25, v38
	v_mul_f32_e32 v38, 0xbeb8f4ab, v6
	v_add_f32_e32 v29, v29, v44
	v_fmamk_f32 v44, v7, 0xbf7ba420, v24
	v_fma_f32 v24, 0xbf7ba420, v7, -v24
	v_mul_f32_e32 v6, 0xbf763a35, v6
	v_sub_f32_e32 v8, v8, v10
	v_fma_f32 v10, 0x3f3d2fb0, v7, -v46
	v_add_f32_e32 v72, v79, v72
	v_add_f32_e32 v47, v50, v47
	;; [unrolled: 1-line block ×4, first 2 shown]
	v_fmamk_f32 v45, v7, 0x3f6eb680, v38
	v_fma_f32 v38, 0x3f6eb680, v7, -v38
	v_add_f32_e32 v24, v39, v24
	v_fmamk_f32 v39, v7, 0xbe8c1d8e, v6
	v_add_f32_e32 v9, v9, v11
	v_mul_f32_e32 v11, 0xbe3c28d5, v8
	v_fma_f32 v6, 0xbe8c1d8e, v7, -v6
	v_add_f32_e32 v10, v13, v10
	v_mul_f32_e32 v13, 0x3eb8f4ab, v8
	v_add_f32_e32 v64, v72, v64
	v_add_f32_e32 v38, v42, v38
	v_add_f32_e32 v42, v47, v44
	v_fmamk_f32 v44, v7, 0x3f3d2fb0, v46
	v_add_f32_e32 v7, v19, v39
	v_fmamk_f32 v19, v9, 0xbf7ba420, v11
	v_fma_f32 v11, 0xbf7ba420, v9, -v11
	v_add_f32_e32 v6, v12, v6
	v_mul_f32_e32 v12, 0xbf06c442, v8
	v_fmamk_f32 v39, v9, 0x3f6eb680, v13
	v_add_f32_e32 v64, v64, v69
	v_add_f32_e32 v11, v15, v11
	;; [unrolled: 1-line block ×3, first 2 shown]
	v_fmamk_f32 v15, v9, 0xbf59a7d5, v12
	v_fma_f32 v13, 0x3f6eb680, v9, -v13
	v_add_f32_e32 v22, v27, v39
	v_mul_f32_e32 v27, 0x3f2c7751, v8
	v_fma_f32 v12, 0xbf59a7d5, v9, -v12
	v_add_f32_e32 v51, v64, v51
	v_add_f32_e32 v15, v23, v15
	v_mul_f32_e32 v23, 0xbf4c4adb, v8
	v_add_f32_e32 v13, v25, v13
	v_fmamk_f32 v25, v9, 0x3f3d2fb0, v27
	v_add_f32_e32 v12, v18, v12
	v_fma_f32 v18, 0x3f3d2fb0, v9, -v27
	v_mul_f32_e32 v27, 0x3f65296c, v8
	v_add_f32_e32 v49, v51, v52
	v_fmamk_f32 v39, v9, 0xbf1a4643, v23
	v_fma_f32 v23, 0xbf1a4643, v9, -v23
	v_add_f32_e32 v25, v26, v25
	v_fmamk_f32 v26, v9, 0x3ee437d1, v27
	v_fma_f32 v27, 0x3ee437d1, v9, -v27
	v_add_f32_e32 v45, v49, v45
	v_add_f32_e32 v23, v38, v23
	v_mul_f32_e32 v38, 0xbf763a35, v8
	v_mul_f32_e32 v8, 0x3f7ee86f, v8
	v_add_f32_e32 v24, v24, v27
	v_lshlrev_b32_e32 v27, 6, v0
	v_add_f32_e32 v14, v14, v44
	v_add_f32_e32 v18, v29, v18
	v_add_f32_e32 v29, v45, v39
	v_fmamk_f32 v39, v9, 0xbe8c1d8e, v38
	v_add_f32_e32 v26, v42, v26
	v_fmamk_f32 v42, v9, 0x3dbcf732, v8
	v_fma_f32 v8, 0x3dbcf732, v9, -v8
	v_fma_f32 v38, 0xbe8c1d8e, v9, -v38
	v_add3_u32 v9, v63, v27, v54
	v_add_f32_e32 v14, v14, v39
	v_add_f32_e32 v7, v7, v42
	;; [unrolled: 1-line block ×4, first 2 shown]
	ds_write2_b32 v9, v43, v19 offset1:1
	ds_write2_b32 v9, v22, v15 offset0:2 offset1:3
	ds_write2_b32 v9, v25, v29 offset0:4 offset1:5
	;; [unrolled: 1-line block ×7, first 2 shown]
	ds_write_b32 v9, v11 offset:64
.LBB0_14:
	s_or_b32 exec_lo, exec_lo, s1
	v_and_b32_e32 v6, 0xff, v0
	v_add_nc_u32_e32 v7, 0x154, v0
	v_mov_b32_e32 v8, 0xf0f1
	v_add_nc_u32_e32 v24, 0xff, v0
	v_add_nc_u32_e32 v23, 0x55, v0
	v_mul_lo_u16 v6, 0xf1, v6
	v_add_nc_u32_e32 v22, 0xaa, v0
	v_mul_u32_u24_sdwa v9, v7, v8 dst_sel:DWORD dst_unused:UNUSED_PAD src0_sel:WORD_0 src1_sel:DWORD
	s_load_dwordx2 s[4:5], s[4:5], 0x0
	v_and_b32_e32 v15, 0xff, v23
	v_lshrrev_b16 v11, 12, v6
	v_mul_u32_u24_sdwa v6, v24, v8 dst_sel:DWORD dst_unused:UNUSED_PAD src0_sel:WORD_0 src1_sel:DWORD
	v_lshrrev_b32_e32 v12, 20, v9
	v_and_b32_e32 v75, 0xff, v22
	v_mov_b32_e32 v9, 4
	v_mul_lo_u16 v8, v11, 17
	v_lshrrev_b32_e32 v27, 20, v6
	v_mul_lo_u16 v6, v12, 17
	s_waitcnt lgkmcnt(0)
	s_barrier
	v_sub_nc_u16 v29, v0, v8
	v_mul_lo_u16 v10, v27, 17
	v_mul_lo_u16 v8, 0xf1, v15
	v_sub_nc_u16 v77, v7, v6
	v_mul_lo_u16 v7, 0xf1, v75
	v_lshlrev_b32_sdwa v6, v9, v29 dst_sel:DWORD dst_unused:UNUSED_PAD src0_sel:DWORD src1_sel:BYTE_0
	v_sub_nc_u16 v79, v24, v10
	v_lshrrev_b16 v78, 12, v8
	buffer_gl0_inv
	v_lshrrev_b16 v80, 12, v7
	global_load_dwordx4 v[42:45], v6, s[12:13]
	v_lshlrev_b32_sdwa v7, v9, v79 dst_sel:DWORD dst_unused:UNUSED_PAD src0_sel:DWORD src1_sel:WORD_0
	v_lshlrev_b32_sdwa v8, v9, v77 dst_sel:DWORD dst_unused:UNUSED_PAD src0_sel:DWORD src1_sel:WORD_0
	v_mov_b32_e32 v10, 2
	v_mul_lo_u16 v15, 0xa1, v15
	v_and_b32_e32 v11, 0xffff, v11
	global_load_dwordx4 v[50:53], v7, s[12:13]
	v_mul_lo_u16 v6, v78, 17
	global_load_dwordx4 v[46:49], v8, s[12:13]
	v_lshrrev_b16 v87, 13, v15
	v_mad_u32_u24 v11, 0xcc, v11, 0
	v_and_b32_e32 v15, 0xffff, v78
	v_sub_nc_u16 v81, v23, v6
	v_mul_lo_u16 v6, v80, 17
	v_and_b32_e32 v78, 0xffff, v80
	v_lshlrev_b32_sdwa v29, v10, v29 dst_sel:DWORD dst_unused:UNUSED_PAD src0_sel:DWORD src1_sel:BYTE_0
	v_mad_u32_u24 v27, 0xcc, v27, 0
	v_lshlrev_b32_sdwa v7, v9, v81 dst_sel:DWORD dst_unused:UNUSED_PAD src0_sel:DWORD src1_sel:BYTE_0
	v_sub_nc_u16 v82, v22, v6
	v_mad_u32_u24 v15, 0xcc, v15, 0
	v_mad_u32_u24 v78, 0xcc, v78, 0
	v_lshlrev_b32_sdwa v79, v10, v79 dst_sel:DWORD dst_unused:UNUSED_PAD src0_sel:DWORD src1_sel:WORD_0
	global_load_dwordx4 v[63:66], v7, s[12:13]
	v_lshlrev_b32_sdwa v6, v9, v82 dst_sel:DWORD dst_unused:UNUSED_PAD src0_sel:DWORD src1_sel:BYTE_0
	v_add3_u32 v29, v11, v29, v54
	v_lshlrev_b32_sdwa v11, v10, v81 dst_sel:DWORD dst_unused:UNUSED_PAD src0_sel:DWORD src1_sel:BYTE_0
	v_lshlrev_b32_sdwa v81, v10, v82 dst_sel:DWORD dst_unused:UNUSED_PAD src0_sel:DWORD src1_sel:BYTE_0
	v_mul_lo_u16 v85, 0xa1, v75
	global_load_dwordx4 v[67:70], v6, s[12:13]
	ds_read_b32 v83, v28
	ds_read2_b32 v[8:9], v56 offset0:169 offset1:254
	ds_read2_b32 v[13:14], v57 offset0:125 offset1:210
	;; [unrolled: 1-line block ×7, first 2 shown]
	v_mad_u32_u24 v86, 0xcc, v12, 0
	v_lshlrev_b32_sdwa v77, v10, v77 dst_sel:DWORD dst_unused:UNUSED_PAD src0_sel:DWORD src1_sel:WORD_0
	v_add3_u32 v27, v27, v79, v54
	v_add3_u32 v15, v15, v11, v54
	;; [unrolled: 1-line block ×3, first 2 shown]
	v_lshrrev_b16 v12, 13, v85
	v_add3_u32 v77, v86, v77, v54
	v_subrev_nc_u32_e32 v6, 51, v0
	v_cmp_gt_u32_e64 s0, 51, v0
	v_mov_b32_e32 v7, 0
	v_mul_lo_u16 v80, v87, 51
	s_waitcnt vmcnt(0) lgkmcnt(0)
	s_barrier
	v_cndmask_b32_e64 v6, v6, v0, s0
	buffer_gl0_inv
	v_mov_b32_e32 v84, 5
	v_sub_nc_u16 v80, v23, v80
	v_lshlrev_b32_e32 v6, 2, v6
	v_lshlrev_b64 v[75:76], 3, v[6:7]
	v_add_co_u32 v75, s0, s12, v75
	v_add_co_ci_u32_e64 v76, s0, s13, v76, s0
	v_cmp_lt_u32_e64 s0, 50, v0
	v_mul_f32_e32 v11, v8, v43
	v_mul_f32_e32 v43, v34, v43
	;; [unrolled: 1-line block ×4, first 2 shown]
	v_fma_f32 v11, v34, v42, -v11
	v_mul_f32_e32 v85, v39, v51
	v_mul_f32_e32 v51, v33, v51
	;; [unrolled: 1-line block ×8, first 2 shown]
	v_fmac_f32_e32 v43, v8, v42
	v_fma_f32 v8, v41, v44, -v79
	v_fmac_f32_e32 v45, v14, v44
	v_fma_f32 v14, v40, v46, -v81
	;; [unrolled: 2-line block ×3, first 2 shown]
	v_fmac_f32_e32 v49, v74, v48
	v_fmac_f32_e32 v51, v39, v50
	v_mul_f32_e32 v34, v9, v64
	v_mul_f32_e32 v40, v35, v64
	;; [unrolled: 1-line block ×4, first 2 shown]
	v_fmac_f32_e32 v53, v73, v52
	v_fma_f32 v34, v35, v63, -v34
	v_mul_f32_e32 v42, v38, v68
	v_mul_f32_e32 v46, v26, v70
	;; [unrolled: 1-line block ×4, first 2 shown]
	v_fmac_f32_e32 v40, v9, v63
	v_fma_f32 v9, v30, v65, -v13
	v_fma_f32 v13, v32, v67, -v42
	v_add_f32_e32 v30, v11, v8
	v_add_f32_e32 v32, v83, v43
	;; [unrolled: 1-line block ×3, first 2 shown]
	v_fmac_f32_e32 v41, v25, v65
	v_fma_f32 v25, v31, v69, -v46
	v_fma_f32 v33, v33, v50, -v85
	;; [unrolled: 1-line block ×3, first 2 shown]
	v_fmac_f32_e32 v44, v38, v67
	v_fmac_f32_e32 v48, v26, v69
	v_add_f32_e32 v26, v62, v11
	v_sub_f32_e32 v31, v43, v45
	v_sub_f32_e32 v11, v11, v8
	v_add_f32_e32 v38, v21, v14
	v_add_f32_e32 v43, v72, v47
	v_add_f32_e32 v46, v47, v49
	v_sub_f32_e32 v52, v51, v53
	v_add_f32_e32 v63, v71, v51
	v_add_f32_e32 v51, v51, v53
	v_fmac_f32_e32 v62, -0.5, v30
	v_add_f32_e32 v30, v32, v45
	v_fmac_f32_e32 v83, -0.5, v35
	v_add_f32_e32 v32, v34, v9
	v_add_f32_e32 v39, v14, v37
	v_sub_f32_e32 v35, v40, v41
	v_add_f32_e32 v45, v18, v40
	v_add_f32_e32 v40, v40, v41
	;; [unrolled: 1-line block ×4, first 2 shown]
	v_sub_f32_e32 v42, v47, v49
	v_sub_f32_e32 v14, v14, v37
	v_add_f32_e32 v47, v20, v33
	v_sub_f32_e32 v33, v33, v36
	v_add_f32_e32 v8, v26, v8
	v_add_f32_e32 v26, v16, v34
	v_add_f32_e32 v37, v38, v37
	v_add_f32_e32 v38, v43, v49
	v_fmac_f32_e32 v72, -0.5, v46
	v_fma_f32 v43, -0.5, v51, v71
	v_fmamk_f32 v46, v31, 0x3f5db3d7, v62
	v_fmac_f32_e32 v62, 0xbf5db3d7, v31
	v_fmamk_f32 v31, v11, 0xbf5db3d7, v83
	v_fmac_f32_e32 v83, 0x3f5db3d7, v11
	v_fma_f32 v11, -0.5, v32, v16
	v_sub_f32_e32 v34, v34, v9
	v_add_f32_e32 v64, v17, v13
	v_sub_f32_e32 v66, v44, v48
	v_fmac_f32_e32 v21, -0.5, v39
	v_fma_f32 v18, -0.5, v40, v18
	v_fmac_f32_e32 v17, -0.5, v65
	v_fma_f32 v20, -0.5, v50, v20
	v_add_f32_e32 v67, v19, v44
	v_add_f32_e32 v44, v44, v48
	;; [unrolled: 1-line block ×4, first 2 shown]
	v_fmamk_f32 v41, v33, 0xbf5db3d7, v43
	v_fmac_f32_e32 v43, 0x3f5db3d7, v33
	v_fmamk_f32 v33, v35, 0x3f5db3d7, v11
	v_fmac_f32_e32 v11, 0xbf5db3d7, v35
	v_sub_f32_e32 v13, v13, v25
	v_add_f32_e32 v25, v64, v25
	v_fmamk_f32 v26, v42, 0x3f5db3d7, v21
	v_fmac_f32_e32 v21, 0xbf5db3d7, v42
	v_fmamk_f32 v35, v34, 0xbf5db3d7, v18
	v_fmac_f32_e32 v18, 0x3f5db3d7, v34
	v_fmamk_f32 v34, v66, 0x3f5db3d7, v17
	v_add_f32_e32 v36, v47, v36
	v_fmamk_f32 v40, v14, 0xbf5db3d7, v72
	v_fmac_f32_e32 v72, 0x3f5db3d7, v14
	v_fmamk_f32 v14, v52, 0x3f5db3d7, v20
	v_fmac_f32_e32 v20, 0xbf5db3d7, v52
	v_fmac_f32_e32 v17, 0xbf5db3d7, v66
	ds_write2_b32 v29, v8, v46 offset1:17
	ds_write_b32 v29, v62 offset:136
	ds_write2_b32 v15, v9, v33 offset1:17
	ds_write_b32 v15, v11 offset:136
	;; [unrolled: 2-line block ×5, first 2 shown]
	v_mul_lo_u16 v21, v12, 51
	v_fmac_f32_e32 v19, -0.5, v44
	v_add_f32_e32 v32, v67, v48
	v_add_f32_e32 v39, v63, v53
	s_waitcnt lgkmcnt(0)
	v_sub_nc_u16 v21, v22, v21
	v_fmamk_f32 v42, v13, 0xbf5db3d7, v19
	v_fmac_f32_e32 v19, 0x3f5db3d7, v13
	s_barrier
	buffer_gl0_inv
	ds_read_b32 v11, v28
	ds_read2_b32 v[25:26], v61 offset0:127 offset1:212
	ds_read2_b32 v[45:46], v56 offset0:169 offset1:254
	;; [unrolled: 1-line block ×7, first 2 shown]
	s_waitcnt lgkmcnt(0)
	s_barrier
	buffer_gl0_inv
	ds_write2_b32 v29, v30, v31 offset1:17
	ds_write_b32 v29, v83 offset:136
	ds_write2_b32 v15, v16, v35 offset1:17
	ds_write_b32 v15, v18 offset:136
	;; [unrolled: 2-line block ×5, first 2 shown]
	v_lshlrev_b32_sdwa v27, v84, v80 dst_sel:DWORD dst_unused:UNUSED_PAD src0_sel:DWORD src1_sel:BYTE_0
	s_waitcnt lgkmcnt(0)
	s_barrier
	buffer_gl0_inv
	s_clause 0x2
	global_load_dwordx4 v[13:16], v[75:76], off offset:272
	global_load_dwordx4 v[29:32], v27, s[12:13] offset:272
	global_load_dwordx4 v[17:20], v[75:76], off offset:288
	v_lshlrev_b32_sdwa v41, v84, v21 dst_sel:DWORD dst_unused:UNUSED_PAD src0_sel:DWORD src1_sel:BYTE_0
	s_clause 0x2
	global_load_dwordx4 v[33:36], v27, s[12:13] offset:288
	global_load_dwordx4 v[37:40], v41, s[12:13] offset:272
	;; [unrolled: 1-line block ×3, first 2 shown]
	v_cndmask_b32_e64 v27, 0, 0x3fc, s0
	v_and_b32_e32 v53, 0xffff, v87
	v_and_b32_e32 v12, 0xffff, v12
	ds_read2_b32 v[64:65], v61 offset0:127 offset1:212
	ds_read2_b32 v[66:67], v56 offset0:169 offset1:254
	;; [unrolled: 1-line block ×3, first 2 shown]
	v_add_nc_u32_e32 v27, 0, v27
	v_mad_u32_u24 v53, 0x3fc, v53, 0
	v_mad_u32_u24 v12, 0x3fc, v12, 0
	ds_read2_b32 v[70:71], v59 offset0:167 offset1:252
	v_lshlrev_b32_sdwa v74, v10, v80 dst_sel:DWORD dst_unused:UNUSED_PAD src0_sel:DWORD src1_sel:BYTE_0
	v_lshlrev_b32_sdwa v10, v10, v21 dst_sel:DWORD dst_unused:UNUSED_PAD src0_sel:DWORD src1_sel:BYTE_0
	ds_read2_b32 v[72:73], v58 offset0:83 offset1:168
	v_add3_u32 v6, v27, v6, v54
	v_add3_u32 v27, v53, v74, v54
	;; [unrolled: 1-line block ×3, first 2 shown]
	ds_read2_b32 v[53:54], v60 offset0:81 offset1:166
	ds_read_b32 v77, v28
	ds_read2_b32 v[74:75], v55 offset0:85 offset1:170
	s_waitcnt vmcnt(0) lgkmcnt(0)
	s_barrier
	buffer_gl0_inv
	v_mul_f32_e32 v10, v64, v14
	v_mul_f32_e32 v12, v25, v14
	;; [unrolled: 1-line block ×20, first 2 shown]
	v_fma_f32 v10, v25, v13, -v10
	v_fmac_f32_e32 v12, v64, v13
	v_fma_f32 v13, v46, v15, -v14
	v_fmac_f32_e32 v16, v67, v15
	v_mul_f32_e32 v15, v54, v44
	v_mul_f32_e32 v40, v52, v40
	;; [unrolled: 1-line block ×3, first 2 shown]
	v_fma_f32 v21, v47, v17, -v21
	v_mul_f32_e32 v25, v63, v44
	v_fmac_f32_e32 v18, v68, v17
	v_fma_f32 v17, v50, v19, -v78
	v_fmac_f32_e32 v20, v71, v19
	v_fma_f32 v19, v26, v29, -v79
	;; [unrolled: 2-line block ×3, first 2 shown]
	v_fma_f32 v29, v48, v33, -v81
	v_fmac_f32_e32 v32, v72, v31
	v_fmac_f32_e32 v34, v69, v33
	v_fma_f32 v31, v62, v35, -v82
	v_fmac_f32_e32 v36, v53, v35
	v_fma_f32 v33, v45, v37, -v83
	;; [unrolled: 2-line block ×3, first 2 shown]
	v_fma_f32 v37, v49, v41, -v85
	v_fma_f32 v15, v63, v43, -v15
	v_fmac_f32_e32 v40, v73, v39
	v_fmac_f32_e32 v14, v70, v41
	v_add_f32_e32 v39, v11, v10
	v_add_f32_e32 v41, v13, v21
	v_fmac_f32_e32 v25, v54, v43
	v_sub_f32_e32 v44, v10, v13
	v_sub_f32_e32 v45, v17, v21
	v_add_f32_e32 v46, v10, v17
	v_sub_f32_e32 v47, v13, v10
	v_sub_f32_e32 v48, v21, v17
	v_add_f32_e32 v49, v77, v12
	;; [unrolled: 3-line block ×3, first 2 shown]
	v_add_f32_e32 v64, v26, v29
	v_add_f32_e32 v69, v19, v31
	;; [unrolled: 1-line block ×4, first 2 shown]
	v_sub_f32_e32 v42, v12, v20
	v_add_f32_e32 v50, v16, v18
	v_sub_f32_e32 v51, v13, v21
	v_add_f32_e32 v54, v12, v20
	v_add_f32_e32 v83, v9, v33
	;; [unrolled: 1-line block ×3, first 2 shown]
	v_fma_f32 v41, -0.5, v41, v11
	v_sub_f32_e32 v43, v16, v18
	v_add_f32_e32 v93, v40, v14
	v_add_f32_e32 v44, v44, v45
	;; [unrolled: 1-line block ×3, first 2 shown]
	v_fmac_f32_e32 v11, -0.5, v46
	v_sub_f32_e32 v12, v16, v12
	v_sub_f32_e32 v65, v30, v36
	v_sub_f32_e32 v67, v19, v26
	v_sub_f32_e32 v70, v26, v19
	v_sub_f32_e32 v78, v26, v29
	v_add_f32_e32 v47, v47, v48
	v_add_f32_e32 v16, v49, v16
	;; [unrolled: 1-line block ×4, first 2 shown]
	v_fma_f32 v52, -0.5, v64, v8
	v_sub_f32_e32 v66, v32, v34
	v_add_f32_e32 v72, v74, v30
	v_sub_f32_e32 v86, v40, v14
	v_fma_f32 v8, -0.5, v69, v8
	v_fma_f32 v64, -0.5, v84, v9
	v_fmac_f32_e32 v9, -0.5, v89
	v_sub_f32_e32 v71, v29, v31
	v_add_f32_e32 v81, v30, v36
	v_sub_f32_e32 v85, v38, v25
	v_sub_f32_e32 v87, v33, v35
	;; [unrolled: 1-line block ×3, first 2 shown]
	v_add_f32_e32 v92, v75, v38
	v_sub_f32_e32 v94, v35, v37
	v_fma_f32 v49, -0.5, v50, v77
	v_fmac_f32_e32 v77, -0.5, v54
	v_add_f32_e32 v35, v83, v35
	v_add_f32_e32 v13, v13, v21
	v_fmamk_f32 v21, v42, 0x3f737871, v41
	v_fma_f32 v69, -0.5, v93, v75
	v_fmac_f32_e32 v75, -0.5, v45
	v_fmamk_f32 v45, v43, 0xbf737871, v11
	v_fmac_f32_e32 v11, 0x3f737871, v43
	v_fmac_f32_e32 v41, 0xbf737871, v42
	v_sub_f32_e32 v62, v18, v20
	v_sub_f32_e32 v68, v31, v29
	v_add_f32_e32 v16, v16, v18
	v_add_f32_e32 v18, v26, v29
	v_fmamk_f32 v26, v65, 0x3f737871, v52
	v_add_f32_e32 v73, v32, v34
	v_sub_f32_e32 v79, v30, v32
	v_sub_f32_e32 v30, v32, v30
	;; [unrolled: 1-line block ×3, first 2 shown]
	v_add_f32_e32 v32, v72, v32
	v_fmamk_f32 v29, v66, 0xbf737871, v8
	v_fmac_f32_e32 v8, 0x3f737871, v66
	v_fmamk_f32 v72, v86, 0xbf737871, v9
	v_fmac_f32_e32 v9, 0x3f737871, v86
	v_sub_f32_e32 v10, v10, v17
	v_sub_f32_e32 v88, v15, v37
	;; [unrolled: 1-line block ×4, first 2 shown]
	v_add_f32_e32 v53, v70, v71
	v_fma_f32 v63, -0.5, v81, v74
	v_add_f32_e32 v40, v92, v40
	v_fmamk_f32 v70, v51, 0x3f737871, v77
	v_fmac_f32_e32 v77, 0xbf737871, v51
	v_fmac_f32_e32 v52, 0xbf737871, v65
	v_add_f32_e32 v35, v35, v37
	v_fmamk_f32 v37, v85, 0x3f737871, v64
	v_fmac_f32_e32 v64, 0xbf737871, v85
	v_fmac_f32_e32 v21, 0x3f167918, v43
	;; [unrolled: 1-line block ×5, first 2 shown]
	v_sub_f32_e32 v46, v14, v25
	v_add_f32_e32 v50, v67, v68
	v_fmac_f32_e32 v26, 0x3f167918, v66
	v_add_f32_e32 v68, v90, v91
	v_fmac_f32_e32 v29, 0x3f167918, v65
	v_fmac_f32_e32 v8, 0xbf167918, v65
	;; [unrolled: 1-line block ×3, first 2 shown]
	v_sub_f32_e32 v19, v19, v31
	v_sub_f32_e32 v39, v25, v14
	v_add_f32_e32 v12, v12, v62
	v_fma_f32 v54, -0.5, v73, v74
	v_add_f32_e32 v67, v87, v88
	v_add_f32_e32 v32, v32, v34
	v_fmamk_f32 v71, v78, 0x3f737871, v63
	v_fmac_f32_e32 v63, 0xbf737871, v78
	v_add_f32_e32 v14, v40, v14
	v_add_f32_e32 v13, v13, v17
	v_fmac_f32_e32 v70, 0xbf167918, v10
	v_fmac_f32_e32 v77, 0x3f167918, v10
	v_fmac_f32_e32 v52, 0xbf167918, v66
	v_fmac_f32_e32 v37, 0x3f167918, v86
	v_fmac_f32_e32 v64, 0xbf167918, v86
	v_fmac_f32_e32 v72, 0x3f167918, v85
	v_fmac_f32_e32 v21, 0x3e9e377a, v44
	v_fmac_f32_e32 v45, 0x3e9e377a, v47
	v_fmac_f32_e32 v11, 0x3e9e377a, v47
	v_fmac_f32_e32 v41, 0x3e9e377a, v44
	v_add_f32_e32 v38, v38, v46
	v_fmamk_f32 v46, v10, 0xbf737871, v49
	v_fmac_f32_e32 v49, 0x3f737871, v10
	v_add_f32_e32 v10, v18, v31
	v_fmac_f32_e32 v26, 0x3e9e377a, v50
	v_sub_f32_e32 v33, v33, v15
	v_add_f32_e32 v15, v35, v15
	v_fmac_f32_e32 v29, 0x3e9e377a, v53
	v_fmac_f32_e32 v8, 0x3e9e377a, v53
	;; [unrolled: 1-line block ×3, first 2 shown]
	v_sub_f32_e32 v80, v36, v34
	v_sub_f32_e32 v82, v34, v36
	v_fmamk_f32 v34, v19, 0xbf737871, v54
	v_fmac_f32_e32 v54, 0x3f737871, v19
	v_add_f32_e32 v42, v16, v20
	v_add_f32_e32 v31, v32, v36
	v_fmac_f32_e32 v71, 0xbf167918, v19
	v_fmac_f32_e32 v63, 0x3f167918, v19
	v_add_f32_e32 v32, v14, v25
	v_fmac_f32_e32 v70, 0x3e9e377a, v12
	v_fmac_f32_e32 v77, 0x3e9e377a, v12
	;; [unrolled: 1-line block ×6, first 2 shown]
	ds_write2_b32 v6, v13, v21 offset1:51
	ds_write2_b32 v6, v45, v11 offset0:102 offset1:153
	ds_write_b32 v6, v41 offset:816
	ds_write2_b32 v27, v10, v26 offset1:51
	ds_write2_b32 v27, v29, v8 offset0:102 offset1:153
	ds_write_b32 v27, v52 offset:816
	;; [unrolled: 3-line block ×3, first 2 shown]
	s_waitcnt lgkmcnt(0)
	s_barrier
	buffer_gl0_inv
	ds_read_b32 v25, v28
	ds_read2_b32 v[12:13], v61 offset0:127 offset1:212
	ds_read2_b32 v[20:21], v56 offset0:169 offset1:254
	;; [unrolled: 1-line block ×7, first 2 shown]
	v_fmamk_f32 v40, v33, 0xbf737871, v69
	v_fmac_f32_e32 v69, 0x3f737871, v33
	v_fmamk_f32 v73, v94, 0x3f737871, v75
	v_fmac_f32_e32 v75, 0xbf737871, v94
	v_fmac_f32_e32 v46, 0xbf167918, v51
	;; [unrolled: 1-line block ×3, first 2 shown]
	v_add_f32_e32 v62, v79, v80
	v_fmac_f32_e32 v34, 0xbf167918, v78
	v_add_f32_e32 v30, v30, v82
	v_add_f32_e32 v39, v95, v39
	v_fmac_f32_e32 v54, 0x3f167918, v78
	v_fmac_f32_e32 v40, 0xbf167918, v94
	;; [unrolled: 1-line block ×15, first 2 shown]
	s_waitcnt lgkmcnt(0)
	s_barrier
	buffer_gl0_inv
	ds_write2_b32 v6, v42, v46 offset1:51
	ds_write2_b32 v6, v70, v77 offset0:102 offset1:153
	ds_write_b32 v6, v49 offset:816
	ds_write2_b32 v27, v31, v34 offset1:51
	ds_write2_b32 v27, v71, v63 offset0:102 offset1:153
	ds_write_b32 v27, v54 offset:816
	;; [unrolled: 3-line block ×3, first 2 shown]
	s_waitcnt lgkmcnt(0)
	s_barrier
	buffer_gl0_inv
	s_and_saveexec_b32 s0, vcc_lo
	s_cbranch_execz .LBB0_16
; %bb.15:
	v_lshlrev_b32_e32 v6, 2, v22
	v_add_nc_u32_e32 v76, 0x1fe, v0
	v_add_nc_u32_e32 v77, 0x2fd, v0
	v_mul_lo_u32 v73, s5, v3
	v_mul_lo_u32 v74, s4, v4
	v_lshlrev_b64 v[26:27], 3, v[6:7]
	v_mov_b32_e32 v6, v7
	v_mad_u64_u32 v[3:4], null, s4, v3, 0
	v_mad_u64_u32 v[53:54], null, s2, v24, 0
	v_add_co_u32 v26, vcc_lo, s12, v26
	v_lshlrev_b64 v[5:6], 3, v[5:6]
	v_add_co_ci_u32_e32 v27, vcc_lo, s13, v27, vcc_lo
	v_add_nc_u32_e32 v78, 0x3fc, v0
	v_mul_hi_u32 v75, 0x80808081, v23
	s_clause 0x1
	global_load_dwordx4 v[29:32], v[26:27], off offset:1920
	global_load_dwordx4 v[33:36], v[26:27], off offset:1904
	v_add_co_u32 v26, vcc_lo, s12, v5
	v_add_co_ci_u32_e32 v27, vcc_lo, s13, v6, vcc_lo
	v_lshlrev_b32_e32 v6, 2, v23
	s_clause 0x1
	global_load_dwordx4 v[37:40], v[26:27], off offset:1904
	global_load_dwordx4 v[41:44], v[26:27], off offset:1920
	v_mad_u64_u32 v[26:27], null, s2, v0, 0
	v_lshlrev_b64 v[5:6], 3, v[6:7]
	v_add_nc_u32_e32 v7, 0x800, v55
	v_add_nc_u32_e32 v57, 0x400, v55
	;; [unrolled: 1-line block ×3, first 2 shown]
	v_mad_u64_u32 v[67:68], null, s2, v76, 0
	v_add_co_u32 v5, vcc_lo, s12, v5
	v_add_co_ci_u32_e32 v6, vcc_lo, s13, v6, vcc_lo
	s_clause 0x1
	global_load_dwordx4 v[45:48], v[5:6], off offset:1904
	global_load_dwordx4 v[49:52], v[5:6], off offset:1920
	ds_read_b32 v28, v28
	v_add_nc_u32_e32 v61, 0x1000, v55
	v_mad_u64_u32 v[69:70], null, s2, v77, 0
	v_add_nc_u32_e32 v63, 0x200, v55
	v_add_nc_u32_e32 v65, 0xa00, v55
	v_mad_u64_u32 v[71:72], null, s2, v78, 0
	ds_read2_b32 v[5:6], v55 offset0:85 offset1:170
	ds_read2_b32 v[55:56], v7 offset0:83 offset1:168
	;; [unrolled: 1-line block ×7, first 2 shown]
	v_mov_b32_e32 v7, v27
	v_add3_u32 v4, v4, v74, v73
	v_mov_b32_e32 v27, v54
	v_lshrrev_b32_e32 v54, 7, v75
	v_lshlrev_b64 v[1:2], 3, v[1:2]
	v_mad_u64_u32 v[73:74], null, s3, v0, v[7:8]
	v_mov_b32_e32 v0, v68
	v_mov_b32_e32 v7, v70
	v_lshlrev_b64 v[3:4], 3, v[3:4]
	s_waitcnt lgkmcnt(7)
	v_mad_u64_u32 v[74:75], null, s3, v24, v[27:28]
	v_mov_b32_e32 v24, v72
	v_mad_u32_u24 v83, 0x3fc, v54, v23
	v_mad_u64_u32 v[75:76], null, s3, v76, v[0:1]
	v_mad_u64_u32 v[76:77], null, s3, v77, v[7:8]
	;; [unrolled: 1-line block ×4, first 2 shown]
	v_add_nc_u32_e32 v84, 0xff, v83
	v_add_co_u32 v0, vcc_lo, s10, v3
	v_add_co_ci_u32_e32 v7, vcc_lo, s11, v4, vcc_lo
	v_mad_u64_u32 v[3:4], null, s2, v84, 0
	v_mov_b32_e32 v27, v73
	v_add_co_u32 v88, vcc_lo, v0, v1
	v_add_nc_u32_e32 v86, 0x2fd, v83
	v_add_nc_u32_e32 v85, 0x1fe, v83
	v_mov_b32_e32 v54, v74
	v_add_co_ci_u32_e32 v89, vcc_lo, v7, v2, vcc_lo
	v_mov_b32_e32 v70, v76
	v_mov_b32_e32 v2, v78
	v_lshlrev_b64 v[0:1], 3, v[26:27]
	v_mad_u64_u32 v[79:80], null, s2, v86, 0
	v_mov_b32_e32 v68, v75
	v_mad_u64_u32 v[73:74], null, s2, v85, 0
	v_mov_b32_e32 v72, v23
	v_lshlrev_b64 v[23:24], 3, v[53:54]
	v_lshlrev_b64 v[53:54], 3, v[69:70]
	v_mad_u64_u32 v[69:70], null, s3, v83, v[2:3]
	v_mov_b32_e32 v2, v4
	v_lshlrev_b64 v[26:27], 3, v[67:68]
	v_add_co_u32 v0, vcc_lo, v88, v0
	v_lshlrev_b64 v[67:68], 3, v[71:72]
	v_mad_u64_u32 v[70:71], null, s3, v84, v[2:3]
	v_add_co_ci_u32_e32 v1, vcc_lo, v89, v1, vcc_lo
	v_mov_b32_e32 v7, v80
	v_add_co_u32 v23, vcc_lo, v88, v23
	v_mov_b32_e32 v4, v74
	v_mov_b32_e32 v78, v69
	v_add_co_ci_u32_e32 v24, vcc_lo, v89, v24, vcc_lo
	v_add_co_u32 v26, vcc_lo, v88, v26
	v_mad_u64_u32 v[75:76], null, s3, v86, v[7:8]
	v_add_co_ci_u32_e32 v27, vcc_lo, v89, v27, vcc_lo
	s_waitcnt lgkmcnt(6)
	v_mad_u64_u32 v[71:72], null, s3, v85, v[4:5]
	v_add_co_u32 v53, vcc_lo, v88, v53
	v_lshlrev_b64 v[76:77], 3, v[77:78]
	v_mov_b32_e32 v4, v70
	v_add_co_ci_u32_e32 v54, vcc_lo, v89, v54, vcc_lo
	v_add_co_u32 v67, vcc_lo, v88, v67
	v_add_co_ci_u32_e32 v68, vcc_lo, v89, v68, vcc_lo
	v_lshlrev_b64 v[2:3], 3, v[3:4]
	v_add_co_u32 v69, vcc_lo, v88, v76
	v_add_co_ci_u32_e32 v70, vcc_lo, v89, v77, vcc_lo
	v_add_nc_u32_e32 v87, 0x3fc, v83
	v_mad_u64_u32 v[81:82], null, s2, v87, 0
	s_waitcnt vmcnt(5)
	v_mul_f32_e32 v72, v18, v30
	s_waitcnt vmcnt(4)
	v_mul_f32_e32 v4, v15, v36
	v_mul_f32_e32 v7, v20, v34
	;; [unrolled: 1-line block ×3, first 2 shown]
	s_waitcnt lgkmcnt(4)
	v_mul_f32_e32 v34, v57, v34
	s_waitcnt lgkmcnt(2)
	v_mul_f32_e32 v32, v62, v32
	v_mul_f32_e32 v36, v56, v36
	;; [unrolled: 1-line block ×3, first 2 shown]
	s_waitcnt vmcnt(3)
	v_mul_f32_e32 v76, v12, v38
	v_mul_f32_e32 v77, v21, v40
	s_waitcnt vmcnt(2)
	v_mul_f32_e32 v78, v19, v44
	v_mul_f32_e32 v80, v10, v42
	;; [unrolled: 1-line block ×3, first 2 shown]
	s_waitcnt lgkmcnt(0)
	v_mul_f32_e32 v42, v65, v42
	v_mul_f32_e32 v38, v63, v38
	;; [unrolled: 1-line block ×3, first 2 shown]
	v_fmac_f32_e32 v4, v56, v35
	v_fmac_f32_e32 v7, v57, v33
	;; [unrolled: 1-line block ×4, first 2 shown]
	v_fma_f32 v20, v20, v33, -v34
	v_fma_f32 v32, v17, v31, -v32
	;; [unrolled: 1-line block ×4, first 2 shown]
	s_waitcnt vmcnt(1)
	v_mul_f32_e32 v30, v14, v48
	v_mul_f32_e32 v17, v13, v46
	s_waitcnt vmcnt(0)
	v_mul_f32_e32 v56, v11, v50
	v_mul_f32_e32 v57, v16, v52
	;; [unrolled: 1-line block ×6, first 2 shown]
	v_fmac_f32_e32 v76, v63, v37
	v_fmac_f32_e32 v77, v58, v39
	;; [unrolled: 1-line block ×4, first 2 shown]
	v_fma_f32 v21, v21, v39, -v40
	v_fma_f32 v35, v10, v41, -v42
	;; [unrolled: 1-line block ×4, first 2 shown]
	v_sub_f32_e32 v12, v4, v7
	v_sub_f32_e32 v19, v72, v74
	v_sub_f32_e32 v36, v20, v32
	v_add_f32_e32 v37, v7, v74
	v_sub_f32_e32 v40, v7, v4
	v_sub_f32_e32 v41, v74, v72
	v_add_f32_e32 v43, v7, v6
	v_sub_f32_e32 v44, v15, v20
	v_sub_f32_e32 v46, v29, v32
	v_add_f32_e32 v48, v20, v32
	v_sub_f32_e32 v58, v20, v15
	v_add_f32_e32 v20, v9, v20
	v_fmac_f32_e32 v30, v55, v47
	v_fmac_f32_e32 v17, v64, v45
	;; [unrolled: 1-line block ×4, first 2 shown]
	v_fma_f32 v13, v13, v45, -v18
	v_fma_f32 v45, v16, v51, -v31
	;; [unrolled: 1-line block ×4, first 2 shown]
	v_add_f32_e32 v42, v4, v72
	v_sub_f32_e32 v59, v32, v29
	v_sub_f32_e32 v11, v76, v77
	;; [unrolled: 1-line block ×3, first 2 shown]
	v_add_f32_e32 v34, v21, v35
	v_sub_f32_e32 v55, v76, v78
	v_sub_f32_e32 v62, v77, v76
	v_add_f32_e32 v64, v76, v78
	v_add_f32_e32 v83, v10, v38
	v_add_f32_e32 v76, v76, v28
	v_add_f32_e32 v84, v25, v10
	v_sub_f32_e32 v39, v15, v29
	v_sub_f32_e32 v50, v4, v72
	;; [unrolled: 1-line block ×3, first 2 shown]
	v_add_f32_e32 v16, v77, v80
	v_sub_f32_e32 v18, v10, v21
	v_sub_f32_e32 v33, v38, v35
	v_add_f32_e32 v85, v12, v19
	v_fma_f32 v7, -0.5, v37, v6
	v_add_f32_e32 v40, v40, v41
	v_add_f32_e32 v4, v4, v43
	;; [unrolled: 1-line block ×4, first 2 shown]
	v_sub_f32_e32 v20, v30, v17
	v_sub_f32_e32 v37, v56, v57
	v_add_f32_e32 v44, v17, v57
	v_add_f32_e32 v92, v30, v56
	v_add_f32_e32 v95, v31, v47
	v_sub_f32_e32 v49, v21, v35
	v_sub_f32_e32 v51, v10, v38
	;; [unrolled: 1-line block ×3, first 2 shown]
	v_fma_f32 v10, -0.5, v42, v6
	v_fma_f32 v6, -0.5, v48, v9
	v_add_f32_e32 v42, v58, v59
	v_sub_f32_e32 v43, v13, v45
	v_sub_f32_e32 v48, v31, v13
	v_add_f32_e32 v59, v13, v45
	v_sub_f32_e32 v93, v13, v31
	v_add_f32_e32 v96, v17, v5
	v_add_f32_e32 v97, v8, v13
	v_add_f32_e32 v98, v11, v14
	v_fma_f32 v11, -0.5, v34, v25
	v_fma_f32 v13, -0.5, v83, v25
	v_add_f32_e32 v25, v77, v76
	v_add_f32_e32 v21, v84, v21
	;; [unrolled: 1-line block ×3, first 2 shown]
	v_sub_f32_e32 v86, v17, v57
	v_fma_f32 v12, -0.5, v16, v28
	v_add_f32_e32 v99, v18, v33
	v_fma_f32 v14, -0.5, v64, v28
	v_fmamk_f32 v16, v39, 0xbf737871, v7
	v_fmac_f32_e32 v7, 0x3f737871, v39
	v_add_f32_e32 v33, v72, v4
	v_add_f32_e32 v64, v20, v37
	v_fma_f32 v20, -0.5, v44, v5
	v_fma_f32 v5, -0.5, v92, v5
	;; [unrolled: 1-line block ×3, first 2 shown]
	v_sub_f32_e32 v61, v77, v80
	v_fmamk_f32 v18, v36, 0x3f737871, v10
	v_fmac_f32_e32 v10, 0xbf737871, v36
	v_fmamk_f32 v15, v50, 0x3f737871, v6
	v_fmac_f32_e32 v6, 0xbf737871, v50
	v_add_f32_e32 v34, v19, v29
	v_fma_f32 v19, -0.5, v59, v8
	v_add_f32_e32 v8, v30, v96
	v_add_f32_e32 v25, v80, v25
	;; [unrolled: 1-line block ×3, first 2 shown]
	v_fma_f32 v9, -0.5, v60, v9
	v_sub_f32_e32 v46, v31, v47
	v_sub_f32_e32 v58, v47, v45
	;; [unrolled: 1-line block ×6, first 2 shown]
	v_add_f32_e32 v59, v31, v97
	v_fmamk_f32 v29, v51, 0x3f737871, v12
	v_fmamk_f32 v28, v55, 0xbf737871, v11
	v_fmac_f32_e32 v12, 0xbf737871, v51
	v_fmac_f32_e32 v11, 0x3f737871, v55
	;; [unrolled: 1-line block ×4, first 2 shown]
	v_fmamk_f32 v37, v43, 0xbf737871, v5
	v_fmamk_f32 v36, v86, 0x3f737871, v4
	v_sub_f32_e32 v63, v80, v78
	v_sub_f32_e32 v66, v35, v38
	v_fmamk_f32 v31, v49, 0xbf737871, v14
	v_fmamk_f32 v30, v61, 0x3f737871, v13
	v_fmac_f32_e32 v14, 0x3f737871, v49
	v_fmac_f32_e32 v13, 0xbf737871, v61
	;; [unrolled: 1-line block ×6, first 2 shown]
	v_add_f32_e32 v8, v56, v8
	v_add_f32_e32 v39, v78, v25
	;; [unrolled: 1-line block ×7, first 2 shown]
	v_fmac_f32_e32 v12, 0xbf167918, v49
	v_fmac_f32_e32 v11, 0x3f167918, v61
	;; [unrolled: 1-line block ×4, first 2 shown]
	v_add_f32_e32 v62, v62, v63
	v_add_f32_e32 v63, v65, v66
	v_fmac_f32_e32 v14, 0xbf167918, v51
	v_fmac_f32_e32 v13, 0x3f167918, v55
	;; [unrolled: 1-line block ×8, first 2 shown]
	v_add_f32_e32 v41, v57, v8
	global_store_dwordx2 v[0:1], v[38:39], off
	v_add_co_u32 v0, vcc_lo, v88, v2
	v_mul_hi_u32 v8, 0x80808081, v22
	v_add_f32_e32 v33, v74, v33
	v_fmac_f32_e32 v18, 0x3e9e377a, v40
	v_fmac_f32_e32 v10, 0x3e9e377a, v40
	v_add_f32_e32 v40, v47, v45
	v_fmac_f32_e32 v12, 0x3e9e377a, v98
	v_fmac_f32_e32 v11, 0x3e9e377a, v99
	v_fmac_f32_e32 v37, 0x3e9e377a, v48
	v_fmac_f32_e32 v36, 0x3e9e377a, v58
	v_add_co_ci_u32_e32 v1, vcc_lo, v89, v3, vcc_lo
	v_mov_b32_e32 v74, v71
	v_mov_b32_e32 v2, v82
	v_fmac_f32_e32 v14, 0x3e9e377a, v62
	v_fmac_f32_e32 v13, 0x3e9e377a, v63
	;; [unrolled: 1-line block ×6, first 2 shown]
	v_mov_b32_e32 v80, v75
	global_store_dwordx2 v[23:24], v[11:12], off
	global_store_dwordx2 v[26:27], v[13:14], off
	;; [unrolled: 1-line block ×6, first 2 shown]
	v_lshlrev_b64 v[0:1], 3, v[73:74]
	v_mad_u64_u32 v[2:3], null, s3, v87, v[2:3]
	v_add_f32_e32 v32, v34, v32
	v_fmamk_f32 v35, v46, 0xbf737871, v20
	v_fmamk_f32 v34, v60, 0x3f737871, v19
	v_fmac_f32_e32 v20, 0x3f737871, v46
	v_fmac_f32_e32 v19, 0xbf737871, v60
	v_lshrrev_b32_e32 v3, 7, v8
	v_lshlrev_b64 v[11:12], 3, v[79:80]
	v_fmac_f32_e32 v35, 0x3f167918, v43
	v_fmac_f32_e32 v34, 0xbf167918, v86
	;; [unrolled: 1-line block ×4, first 2 shown]
	v_add_co_u32 v0, vcc_lo, v88, v0
	v_mad_u32_u24 v23, 0x3fc, v3, v22
	v_add_co_ci_u32_e32 v1, vcc_lo, v89, v1, vcc_lo
	v_fmac_f32_e32 v4, 0xbf737871, v86
	v_add_co_u32 v11, vcc_lo, v88, v11
	v_fmac_f32_e32 v35, 0x3e9e377a, v64
	v_fmac_f32_e32 v34, 0x3e9e377a, v44
	;; [unrolled: 1-line block ×4, first 2 shown]
	v_add_co_ci_u32_e32 v12, vcc_lo, v89, v12, vcc_lo
	v_add_nc_u32_e32 v21, 0xff, v23
	v_fmamk_f32 v17, v52, 0xbf737871, v9
	v_fmac_f32_e32 v9, 0x3f737871, v52
	v_fmac_f32_e32 v4, 0xbf167918, v60
	v_add_nc_u32_e32 v24, 0x1fe, v23
	v_mov_b32_e32 v82, v2
	v_mad_u64_u32 v[2:3], null, s2, v23, 0
	global_store_dwordx2 v[0:1], v[19:20], off
	global_store_dwordx2 v[11:12], v[34:35], off
	v_mad_u64_u32 v[11:12], null, s2, v21, 0
	v_fmac_f32_e32 v9, 0x3f167918, v50
	v_fmac_f32_e32 v4, 0x3e9e377a, v58
	v_mad_u64_u32 v[13:14], null, s2, v24, 0
	v_fmac_f32_e32 v5, 0x3f737871, v43
	v_fmac_f32_e32 v9, 0x3e9e377a, v42
	v_lshlrev_b64 v[0:1], 3, v[81:82]
	v_mov_b32_e32 v8, v12
	v_mad_u64_u32 v[19:20], null, s3, v23, v[3:4]
	v_add_nc_u32_e32 v26, 0x2fd, v23
	v_fmac_f32_e32 v5, 0x3f167918, v46
	v_mov_b32_e32 v3, v14
	v_mad_u64_u32 v[20:21], null, s3, v21, v[8:9]
	v_add_co_u32 v0, vcc_lo, v88, v0
	v_mad_u64_u32 v[21:22], null, s2, v26, 0
	v_add_nc_u32_e32 v8, 0x3fc, v23
	v_fmac_f32_e32 v5, 0x3e9e377a, v48
	v_add_co_ci_u32_e32 v1, vcc_lo, v89, v1, vcc_lo
	v_mad_u64_u32 v[23:24], null, s3, v24, v[3:4]
	v_mov_b32_e32 v3, v19
	v_mad_u64_u32 v[24:25], null, s2, v8, 0
	global_store_dwordx2 v[0:1], v[4:5], off
	v_mov_b32_e32 v0, v22
	v_lshlrev_b64 v[1:2], 3, v[2:3]
	v_mov_b32_e32 v12, v20
	v_mov_b32_e32 v14, v23
	v_fmac_f32_e32 v17, 0xbf167918, v50
	v_fmac_f32_e32 v7, 0x3e9e377a, v85
	;; [unrolled: 1-line block ×3, first 2 shown]
	v_mad_u64_u32 v[3:4], null, s3, v26, v[0:1]
	v_mov_b32_e32 v0, v25
	v_add_co_u32 v1, vcc_lo, v88, v1
	v_lshlrev_b64 v[4:5], 3, v[11:12]
	v_add_co_ci_u32_e32 v2, vcc_lo, v89, v2, vcc_lo
	v_mad_u64_u32 v[11:12], null, s3, v8, v[0:1]
	v_lshlrev_b64 v[12:13], 3, v[13:14]
	v_mov_b32_e32 v22, v3
	v_add_co_u32 v3, vcc_lo, v88, v4
	v_add_co_ci_u32_e32 v4, vcc_lo, v89, v5, vcc_lo
	v_mov_b32_e32 v25, v11
	v_lshlrev_b64 v[19:20], 3, v[21:22]
	v_add_co_u32 v11, vcc_lo, v88, v12
	v_add_co_ci_u32_e32 v12, vcc_lo, v89, v13, vcc_lo
	v_lshlrev_b64 v[13:14], 3, v[24:25]
	v_add_co_u32 v19, vcc_lo, v88, v19
	v_add_co_ci_u32_e32 v20, vcc_lo, v89, v20, vcc_lo
	v_fmac_f32_e32 v17, 0x3e9e377a, v42
	v_add_co_u32 v13, vcc_lo, v88, v13
	v_add_co_ci_u32_e32 v14, vcc_lo, v89, v14, vcc_lo
	global_store_dwordx2 v[1:2], v[32:33], off
	global_store_dwordx2 v[3:4], v[9:10], off
	;; [unrolled: 1-line block ×5, first 2 shown]
.LBB0_16:
	s_endpgm
	.section	.rodata,"a",@progbits
	.p2align	6, 0x0
	.amdhsa_kernel fft_rtc_fwd_len1275_factors_17_3_5_5_wgs_255_tpt_85_halfLds_sp_op_CI_CI_sbrr_dirReg
		.amdhsa_group_segment_fixed_size 0
		.amdhsa_private_segment_fixed_size 0
		.amdhsa_kernarg_size 104
		.amdhsa_user_sgpr_count 6
		.amdhsa_user_sgpr_private_segment_buffer 1
		.amdhsa_user_sgpr_dispatch_ptr 0
		.amdhsa_user_sgpr_queue_ptr 0
		.amdhsa_user_sgpr_kernarg_segment_ptr 1
		.amdhsa_user_sgpr_dispatch_id 0
		.amdhsa_user_sgpr_flat_scratch_init 0
		.amdhsa_user_sgpr_private_segment_size 0
		.amdhsa_wavefront_size32 1
		.amdhsa_uses_dynamic_stack 0
		.amdhsa_system_sgpr_private_segment_wavefront_offset 0
		.amdhsa_system_sgpr_workgroup_id_x 1
		.amdhsa_system_sgpr_workgroup_id_y 0
		.amdhsa_system_sgpr_workgroup_id_z 0
		.amdhsa_system_sgpr_workgroup_info 0
		.amdhsa_system_vgpr_workitem_id 0
		.amdhsa_next_free_vgpr 100
		.amdhsa_next_free_sgpr 31
		.amdhsa_reserve_vcc 1
		.amdhsa_reserve_flat_scratch 0
		.amdhsa_float_round_mode_32 0
		.amdhsa_float_round_mode_16_64 0
		.amdhsa_float_denorm_mode_32 3
		.amdhsa_float_denorm_mode_16_64 3
		.amdhsa_dx10_clamp 1
		.amdhsa_ieee_mode 1
		.amdhsa_fp16_overflow 0
		.amdhsa_workgroup_processor_mode 1
		.amdhsa_memory_ordered 1
		.amdhsa_forward_progress 0
		.amdhsa_shared_vgpr_count 0
		.amdhsa_exception_fp_ieee_invalid_op 0
		.amdhsa_exception_fp_denorm_src 0
		.amdhsa_exception_fp_ieee_div_zero 0
		.amdhsa_exception_fp_ieee_overflow 0
		.amdhsa_exception_fp_ieee_underflow 0
		.amdhsa_exception_fp_ieee_inexact 0
		.amdhsa_exception_int_div_zero 0
	.end_amdhsa_kernel
	.text
.Lfunc_end0:
	.size	fft_rtc_fwd_len1275_factors_17_3_5_5_wgs_255_tpt_85_halfLds_sp_op_CI_CI_sbrr_dirReg, .Lfunc_end0-fft_rtc_fwd_len1275_factors_17_3_5_5_wgs_255_tpt_85_halfLds_sp_op_CI_CI_sbrr_dirReg
                                        ; -- End function
	.section	.AMDGPU.csdata,"",@progbits
; Kernel info:
; codeLenInByte = 13528
; NumSgprs: 33
; NumVgprs: 100
; ScratchSize: 0
; MemoryBound: 0
; FloatMode: 240
; IeeeMode: 1
; LDSByteSize: 0 bytes/workgroup (compile time only)
; SGPRBlocks: 4
; VGPRBlocks: 12
; NumSGPRsForWavesPerEU: 33
; NumVGPRsForWavesPerEU: 100
; Occupancy: 9
; WaveLimiterHint : 1
; COMPUTE_PGM_RSRC2:SCRATCH_EN: 0
; COMPUTE_PGM_RSRC2:USER_SGPR: 6
; COMPUTE_PGM_RSRC2:TRAP_HANDLER: 0
; COMPUTE_PGM_RSRC2:TGID_X_EN: 1
; COMPUTE_PGM_RSRC2:TGID_Y_EN: 0
; COMPUTE_PGM_RSRC2:TGID_Z_EN: 0
; COMPUTE_PGM_RSRC2:TIDIG_COMP_CNT: 0
	.text
	.p2alignl 6, 3214868480
	.fill 48, 4, 3214868480
	.type	__hip_cuid_8eee87f16752c644,@object ; @__hip_cuid_8eee87f16752c644
	.section	.bss,"aw",@nobits
	.globl	__hip_cuid_8eee87f16752c644
__hip_cuid_8eee87f16752c644:
	.byte	0                               ; 0x0
	.size	__hip_cuid_8eee87f16752c644, 1

	.ident	"AMD clang version 19.0.0git (https://github.com/RadeonOpenCompute/llvm-project roc-6.4.0 25133 c7fe45cf4b819c5991fe208aaa96edf142730f1d)"
	.section	".note.GNU-stack","",@progbits
	.addrsig
	.addrsig_sym __hip_cuid_8eee87f16752c644
	.amdgpu_metadata
---
amdhsa.kernels:
  - .args:
      - .actual_access:  read_only
        .address_space:  global
        .offset:         0
        .size:           8
        .value_kind:     global_buffer
      - .offset:         8
        .size:           8
        .value_kind:     by_value
      - .actual_access:  read_only
        .address_space:  global
        .offset:         16
        .size:           8
        .value_kind:     global_buffer
      - .actual_access:  read_only
        .address_space:  global
        .offset:         24
        .size:           8
        .value_kind:     global_buffer
      - .actual_access:  read_only
        .address_space:  global
        .offset:         32
        .size:           8
        .value_kind:     global_buffer
      - .offset:         40
        .size:           8
        .value_kind:     by_value
      - .actual_access:  read_only
        .address_space:  global
        .offset:         48
        .size:           8
        .value_kind:     global_buffer
      - .actual_access:  read_only
        .address_space:  global
        .offset:         56
        .size:           8
        .value_kind:     global_buffer
      - .offset:         64
        .size:           4
        .value_kind:     by_value
      - .actual_access:  read_only
        .address_space:  global
        .offset:         72
        .size:           8
        .value_kind:     global_buffer
      - .actual_access:  read_only
        .address_space:  global
        .offset:         80
        .size:           8
        .value_kind:     global_buffer
      - .actual_access:  read_only
        .address_space:  global
        .offset:         88
        .size:           8
        .value_kind:     global_buffer
      - .actual_access:  write_only
        .address_space:  global
        .offset:         96
        .size:           8
        .value_kind:     global_buffer
    .group_segment_fixed_size: 0
    .kernarg_segment_align: 8
    .kernarg_segment_size: 104
    .language:       OpenCL C
    .language_version:
      - 2
      - 0
    .max_flat_workgroup_size: 255
    .name:           fft_rtc_fwd_len1275_factors_17_3_5_5_wgs_255_tpt_85_halfLds_sp_op_CI_CI_sbrr_dirReg
    .private_segment_fixed_size: 0
    .sgpr_count:     33
    .sgpr_spill_count: 0
    .symbol:         fft_rtc_fwd_len1275_factors_17_3_5_5_wgs_255_tpt_85_halfLds_sp_op_CI_CI_sbrr_dirReg.kd
    .uniform_work_group_size: 1
    .uses_dynamic_stack: false
    .vgpr_count:     100
    .vgpr_spill_count: 0
    .wavefront_size: 32
    .workgroup_processor_mode: 1
amdhsa.target:   amdgcn-amd-amdhsa--gfx1030
amdhsa.version:
  - 1
  - 2
...

	.end_amdgpu_metadata
